;; amdgpu-corpus repo=ROCm/rocFFT kind=compiled arch=gfx906 opt=O3
	.text
	.amdgcn_target "amdgcn-amd-amdhsa--gfx906"
	.amdhsa_code_object_version 6
	.protected	bluestein_single_fwd_len2592_dim1_dp_op_CI_CI ; -- Begin function bluestein_single_fwd_len2592_dim1_dp_op_CI_CI
	.globl	bluestein_single_fwd_len2592_dim1_dp_op_CI_CI
	.p2align	8
	.type	bluestein_single_fwd_len2592_dim1_dp_op_CI_CI,@function
bluestein_single_fwd_len2592_dim1_dp_op_CI_CI: ; @bluestein_single_fwd_len2592_dim1_dp_op_CI_CI
; %bb.0:
	s_load_dwordx4 s[16:19], s[4:5], 0x28
	v_mul_u32_u24_e32 v1, 0x130, v0
	v_add_u32_sdwa v172, s6, v1 dst_sel:DWORD dst_unused:UNUSED_PAD src0_sel:DWORD src1_sel:WORD_1
	v_mov_b32_e32 v173, 0
	s_waitcnt lgkmcnt(0)
	v_cmp_gt_u64_e32 vcc, s[16:17], v[172:173]
	s_and_saveexec_b64 s[0:1], vcc
	s_cbranch_execz .LBB0_2
; %bb.1:
	s_load_dwordx4 s[0:3], s[4:5], 0x18
	s_load_dwordx4 s[8:11], s[4:5], 0x0
	s_movk_i32 s17, 0xd8
	v_mul_lo_u16_sdwa v1, v1, s17 dst_sel:DWORD dst_unused:UNUSED_PAD src0_sel:WORD_1 src1_sel:DWORD
	v_sub_u16_e32 v176, v0, v1
	s_waitcnt lgkmcnt(0)
	s_load_dwordx4 s[12:15], s[0:1], 0x0
	v_lshlrev_b32_e32 v175, 4, v176
	s_movk_i32 s6, 0x1000
	v_mov_b32_e32 v177, 0xffff8680
	s_mov_b32 s16, 0x8000
	s_waitcnt lgkmcnt(0)
	v_mad_u64_u32 v[0:1], s[0:1], s14, v172, 0
	v_mad_u64_u32 v[2:3], s[0:1], s12, v176, 0
	s_movk_i32 s14, 0x5000
	v_mov_b32_e32 v129, s11
	v_mad_u64_u32 v[4:5], s[0:1], s15, v172, v[1:2]
	s_movk_i32 s15, 0x6000
	v_mov_b32_e32 v128, s10
	v_mad_u64_u32 v[5:6], s[0:1], s13, v176, v[3:4]
	v_mov_b32_e32 v1, v4
	v_lshlrev_b64 v[0:1], 4, v[0:1]
	v_mov_b32_e32 v6, s19
	v_mov_b32_e32 v3, v5
	v_add_co_u32_e32 v4, vcc, s18, v0
	v_addc_co_u32_e32 v5, vcc, v6, v1, vcc
	v_lshlrev_b64 v[0:1], 4, v[2:3]
	v_mov_b32_e32 v2, s9
	v_add_co_u32_e32 v0, vcc, v4, v0
	v_addc_co_u32_e32 v1, vcc, v5, v1, vcc
	v_add_co_u32_e32 v173, vcc, s8, v175
	s_mul_i32 s0, s13, 0x1b00
	s_mul_hi_u32 s1, s12, 0x1b00
	v_addc_co_u32_e32 v174, vcc, 0, v2, vcc
	s_add_i32 s0, s1, s0
	s_mul_i32 s1, s12, 0x1b00
	v_mov_b32_e32 v2, s0
	v_add_co_u32_e32 v4, vcc, s1, v0
	v_addc_co_u32_e32 v5, vcc, v1, v2, vcc
	global_load_dwordx4 v[48:51], v[0:1], off
	global_load_dwordx4 v[52:55], v[4:5], off
	v_add_co_u32_e32 v0, vcc, s6, v173
	v_addc_co_u32_e32 v1, vcc, 0, v174, vcc
	v_mov_b32_e32 v6, s0
	v_add_co_u32_e32 v8, vcc, s1, v4
	v_addc_co_u32_e32 v9, vcc, v5, v6, vcc
	s_movk_i32 s6, 0x3000
	v_add_co_u32_e32 v4, vcc, s6, v173
	v_addc_co_u32_e32 v5, vcc, 0, v174, vcc
	v_mov_b32_e32 v10, s0
	v_add_co_u32_e32 v12, vcc, s1, v8
	v_addc_co_u32_e32 v13, vcc, v9, v10, vcc
	v_add_co_u32_e32 v36, vcc, s14, v173
	v_addc_co_u32_e32 v37, vcc, 0, v174, vcc
	v_mov_b32_e32 v14, s0
	v_add_co_u32_e32 v16, vcc, s1, v12
	v_addc_co_u32_e32 v17, vcc, v13, v14, vcc
	global_load_dwordx4 v[56:59], v[8:9], off
	global_load_dwordx4 v[60:63], v[12:13], off
	v_add_co_u32_e32 v12, vcc, s15, v173
	v_addc_co_u32_e32 v13, vcc, 0, v174, vcc
	global_load_dwordx4 v[64:67], v[16:17], off
	v_mov_b32_e32 v18, s0
	v_add_co_u32_e32 v16, vcc, s1, v16
	v_addc_co_u32_e32 v17, vcc, v17, v18, vcc
	v_mad_u64_u32 v[24:25], s[6:7], s12, v177, v[16:17]
	s_mul_i32 s6, s13, 0xffff8680
	v_add_co_u32_e32 v18, vcc, s16, v173
	s_sub_i32 s6, s6, s12
	v_addc_co_u32_e32 v19, vcc, 0, v174, vcc
	v_add_u32_e32 v25, s6, v25
	global_load_dwordx4 v[0:3], v[0:1], off offset:2816
	v_mov_b32_e32 v26, s0
	global_load_dwordx4 v[4:7], v[4:5], off offset:1536
	v_add_co_u32_e32 v28, vcc, s1, v24
	global_load_dwordx4 v[8:11], v[36:37], off offset:256
	global_load_dwordx4 v[20:23], v[18:19], off offset:1792
	global_load_dwordx4 v[68:71], v[16:17], off
	v_addc_co_u32_e32 v29, vcc, v25, v26, vcc
	global_load_dwordx4 v[12:15], v[12:13], off offset:3072
	s_nop 0
	global_load_dwordx4 v[72:75], v[24:25], off
	global_load_dwordx4 v[44:47], v175, s[8:9]
	global_load_dwordx4 v[16:19], v175, s[8:9] offset:3456
	s_movk_i32 s6, 0x2000
	v_add_co_u32_e32 v24, vcc, s6, v173
	v_addc_co_u32_e32 v25, vcc, 0, v174, vcc
	v_mov_b32_e32 v30, s0
	v_add_co_u32_e32 v32, vcc, s1, v28
	v_addc_co_u32_e32 v33, vcc, v29, v30, vcc
	s_movk_i32 s6, 0x4000
	global_load_dwordx4 v[76:79], v[28:29], off
	v_add_co_u32_e32 v28, vcc, s6, v173
	v_addc_co_u32_e32 v29, vcc, 0, v174, vcc
	v_mov_b32_e32 v34, s0
	v_add_co_u32_e32 v38, vcc, s1, v32
	v_addc_co_u32_e32 v39, vcc, v33, v34, vcc
	global_load_dwordx4 v[24:27], v[24:25], off offset:2176
	v_add_co_u32_e32 v40, vcc, s1, v38
	global_load_dwordx4 v[80:83], v[32:33], off
	s_movk_i32 s12, 0x7000
	global_load_dwordx4 v[28:31], v[28:29], off offset:896
	s_nop 0
	global_load_dwordx4 v[84:87], v[38:39], off
	global_load_dwordx4 v[32:35], v[36:37], off offset:3712
	v_mov_b32_e32 v36, s0
	v_addc_co_u32_e32 v41, vcc, v39, v36, vcc
	v_add_co_u32_e32 v36, vcc, s12, v173
	v_addc_co_u32_e32 v37, vcc, 0, v174, vcc
	global_load_dwordx4 v[88:91], v[40:41], off
	v_mov_b32_e32 v42, s0
	v_add_co_u32_e32 v40, vcc, s1, v40
	v_addc_co_u32_e32 v41, vcc, v41, v42, vcc
	s_mov_b32 s13, 0x9000
	global_load_dwordx4 v[92:95], v[40:41], off
	v_add_co_u32_e32 v40, vcc, s13, v173
	global_load_dwordx4 v[36:39], v[36:37], off offset:2432
	v_addc_co_u32_e32 v41, vcc, 0, v174, vcc
	global_load_dwordx4 v[40:43], v[40:41], off offset:1152
	s_load_dwordx4 s[0:3], s[2:3], 0x0
	s_mov_b32 s6, 0xe8584caa
	s_mov_b32 s7, 0x3febb67a
	;; [unrolled: 1-line block ×4, first 2 shown]
	s_movk_i32 s18, 0xab
	s_mov_b32 s19, 0xaaab
	s_load_dwordx2 s[4:5], s[4:5], 0x38
	s_waitcnt vmcnt(18)
	v_mul_f64 v[100:101], v[54:55], v[2:3]
	v_mul_f64 v[102:103], v[52:53], v[2:3]
	s_waitcnt vmcnt(17)
	v_mul_f64 v[104:105], v[58:59], v[6:7]
	v_mul_f64 v[106:107], v[56:57], v[6:7]
	;; [unrolled: 3-line block ×3, first 2 shown]
	v_fma_f64 v[52:53], v[52:53], v[0:1], v[100:101]
	v_fma_f64 v[54:55], v[54:55], v[0:1], -v[102:103]
	s_waitcnt vmcnt(11)
	v_mul_f64 v[96:97], v[50:51], v[46:47]
	v_mul_f64 v[98:99], v[48:49], v[46:47]
	v_fma_f64 v[56:57], v[56:57], v[4:5], v[104:105]
	v_fma_f64 v[58:59], v[58:59], v[4:5], -v[106:107]
	v_fma_f64 v[60:61], v[60:61], v[8:9], v[108:109]
	v_fma_f64 v[62:63], v[62:63], v[8:9], -v[110:111]
	;; [unrolled: 2-line block ×3, first 2 shown]
	ds_write_b128 v175, v[48:51]
	ds_write_b128 v175, v[52:55] offset:6912
	ds_write_b128 v175, v[56:59] offset:13824
	;; [unrolled: 1-line block ×3, first 2 shown]
	v_mul_f64 v[48:49], v[66:67], v[14:15]
	v_mul_f64 v[50:51], v[64:65], v[14:15]
	v_mul_f64 v[52:53], v[70:71], v[22:23]
	v_mul_f64 v[54:55], v[68:69], v[22:23]
	s_waitcnt vmcnt(10)
	v_mul_f64 v[56:57], v[74:75], v[18:19]
	v_mul_f64 v[58:59], v[72:73], v[18:19]
	s_waitcnt vmcnt(8)
	v_mul_f64 v[60:61], v[78:79], v[26:27]
	v_mul_f64 v[62:63], v[76:77], v[26:27]
	v_fma_f64 v[48:49], v[64:65], v[12:13], v[48:49]
	v_fma_f64 v[50:51], v[66:67], v[12:13], -v[50:51]
	s_waitcnt vmcnt(6)
	v_mul_f64 v[64:65], v[82:83], v[30:31]
	v_mul_f64 v[66:67], v[80:81], v[30:31]
	v_fma_f64 v[52:53], v[68:69], v[20:21], v[52:53]
	v_fma_f64 v[54:55], v[70:71], v[20:21], -v[54:55]
	;; [unrolled: 5-line block ×3, first 2 shown]
	v_fma_f64 v[60:61], v[76:77], v[24:25], v[60:61]
	v_fma_f64 v[62:63], v[78:79], v[24:25], -v[62:63]
	v_fma_f64 v[64:65], v[80:81], v[28:29], v[64:65]
	v_fma_f64 v[66:67], v[82:83], v[28:29], -v[66:67]
	;; [unrolled: 2-line block ×3, first 2 shown]
	s_waitcnt vmcnt(1)
	v_mul_f64 v[72:73], v[90:91], v[38:39]
	v_mul_f64 v[74:75], v[88:89], v[38:39]
	s_waitcnt vmcnt(0)
	v_mul_f64 v[76:77], v[94:95], v[42:43]
	v_mul_f64 v[78:79], v[92:93], v[42:43]
	v_fma_f64 v[72:73], v[88:89], v[36:37], v[72:73]
	v_fma_f64 v[74:75], v[90:91], v[36:37], -v[74:75]
	v_fma_f64 v[76:77], v[92:93], v[40:41], v[76:77]
	v_fma_f64 v[78:79], v[94:95], v[40:41], -v[78:79]
	ds_write_b128 v175, v[48:51] offset:27648
	ds_write_b128 v175, v[52:55] offset:34560
	;; [unrolled: 1-line block ×8, first 2 shown]
	s_waitcnt lgkmcnt(0)
	s_barrier
	ds_read_b128 v[48:51], v175 offset:13824
	ds_read_b128 v[52:55], v175 offset:27648
	;; [unrolled: 1-line block ×3, first 2 shown]
	ds_read_b128 v[60:63], v175
	ds_read_b128 v[64:67], v175 offset:3456
	ds_read_b128 v[68:71], v175 offset:17280
	;; [unrolled: 1-line block ×4, first 2 shown]
	s_waitcnt lgkmcnt(4)
	v_add_f64 v[96:97], v[60:61], v[48:49]
	v_add_f64 v[98:99], v[48:49], v[52:53]
	ds_read_b128 v[80:83], v175 offset:24192
	ds_read_b128 v[84:87], v175 offset:38016
	;; [unrolled: 1-line block ×4, first 2 shown]
	s_waitcnt lgkmcnt(4)
	v_add_f64 v[100:101], v[76:77], v[56:57]
	v_add_f64 v[102:103], v[78:79], v[58:59]
	v_add_f64 v[106:107], v[78:79], -v[58:59]
	v_add_f64 v[108:109], v[50:51], v[54:55]
	v_add_f64 v[104:105], v[96:97], v[52:53]
	v_fma_f64 v[60:61], v[98:99], -0.5, v[60:61]
	v_add_f64 v[96:97], v[50:51], -v[54:55]
	v_add_f64 v[50:51], v[62:63], v[50:51]
	s_waitcnt lgkmcnt(1)
	v_fma_f64 v[98:99], v[100:101], -0.5, v[88:89]
	v_fma_f64 v[100:101], v[102:103], -0.5, v[90:91]
	v_add_f64 v[102:103], v[76:77], -v[56:57]
	v_fma_f64 v[62:63], v[108:109], -0.5, v[62:63]
	v_add_f64 v[48:49], v[48:49], -v[52:53]
	v_add_f64 v[116:117], v[68:69], v[72:73]
	v_fma_f64 v[110:111], v[96:97], s[6:7], v[60:61]
	v_fma_f64 v[112:113], v[96:97], s[8:9], v[60:61]
	;; [unrolled: 1-line block ×6, first 2 shown]
	v_add_f64 v[102:103], v[50:51], v[54:55]
	v_add_f64 v[50:51], v[88:89], v[76:77]
	v_add_f64 v[76:77], v[90:91], v[78:79]
	v_fma_f64 v[90:91], v[48:49], s[8:9], v[62:63]
	v_mul_f64 v[54:55], v[96:97], -0.5
	v_mul_f64 v[78:79], v[98:99], s[8:9]
	v_mul_f64 v[52:53], v[60:61], s[6:7]
	v_mul_f64 v[88:89], v[100:101], -0.5
	v_fma_f64 v[106:107], v[48:49], s[6:7], v[62:63]
	v_add_f64 v[62:63], v[50:51], v[56:57]
	v_add_f64 v[118:119], v[80:81], v[84:85]
	;; [unrolled: 1-line block ×3, first 2 shown]
	v_fma_f64 v[100:101], v[100:101], s[6:7], v[54:55]
	v_add_f64 v[108:109], v[76:77], v[58:59]
	v_fma_f64 v[98:99], v[98:99], 0.5, v[52:53]
	v_fma_f64 v[78:79], v[60:61], 0.5, v[78:79]
	v_fma_f64 v[114:115], v[96:97], s[8:9], v[88:89]
	v_add_f64 v[48:49], v[104:105], v[62:63]
	v_add_f64 v[60:61], v[104:105], -v[62:63]
	s_waitcnt lgkmcnt(0)
	v_fma_f64 v[104:105], v[118:119], -0.5, v[92:93]
	v_add_f64 v[56:57], v[112:113], v[100:101]
	v_add_f64 v[88:89], v[112:113], -v[100:101]
	v_add_f64 v[52:53], v[110:111], v[98:99]
	v_add_f64 v[76:77], v[110:111], -v[98:99]
	v_add_f64 v[97:98], v[64:65], v[68:69]
	v_fma_f64 v[64:65], v[116:117], -0.5, v[64:65]
	v_add_f64 v[99:100], v[70:71], -v[74:75]
	v_fma_f64 v[110:111], v[120:121], -0.5, v[94:95]
	v_add_f64 v[112:113], v[80:81], -v[84:85]
	v_add_f64 v[116:117], v[82:83], -v[86:87]
	v_add_f64 v[118:119], v[70:71], v[74:75]
	v_add_f64 v[70:71], v[66:67], v[70:71]
	;; [unrolled: 1-line block ×3, first 2 shown]
	v_add_f64 v[62:63], v[102:103], -v[108:109]
	v_fma_f64 v[101:102], v[99:100], s[6:7], v[64:65]
	v_fma_f64 v[99:100], v[99:100], s[8:9], v[64:65]
	v_fma_f64 v[64:65], v[112:113], s[8:9], v[110:111]
	v_fma_f64 v[108:109], v[116:117], s[8:9], v[104:105]
	v_fma_f64 v[103:104], v[116:117], s[6:7], v[104:105]
	v_fma_f64 v[110:111], v[112:113], s[6:7], v[110:111]
	v_add_f64 v[112:113], v[70:71], v[74:75]
	v_add_f64 v[70:71], v[92:93], v[80:81]
	;; [unrolled: 1-line block ×4, first 2 shown]
	v_fma_f64 v[66:67], v[118:119], -0.5, v[66:67]
	v_add_f64 v[68:69], v[68:69], -v[72:73]
	v_mul_f64 v[72:73], v[64:65], s[6:7]
	v_mul_f64 v[82:83], v[103:104], s[8:9]
	v_mul_f64 v[74:75], v[108:109], -0.5
	v_mul_f64 v[92:93], v[110:111], -0.5
	v_add_f64 v[84:85], v[70:71], v[84:85]
	v_add_f64 v[54:55], v[90:91], v[78:79]
	;; [unrolled: 1-line block ×4, first 2 shown]
	v_fma_f64 v[94:95], v[68:69], s[8:9], v[66:67]
	v_fma_f64 v[103:104], v[103:104], 0.5, v[72:73]
	v_fma_f64 v[118:119], v[64:65], 0.5, v[82:83]
	v_fma_f64 v[116:117], v[68:69], s[6:7], v[66:67]
	v_fma_f64 v[110:111], v[110:111], s[6:7], v[74:75]
	v_fma_f64 v[108:109], v[108:109], s[8:9], v[92:93]
	v_add_f64 v[78:79], v[90:91], -v[78:79]
	v_add_f64 v[90:91], v[106:107], -v[114:115]
	v_add_f64 v[64:65], v[97:98], v[84:85]
	v_add_f64 v[80:81], v[97:98], -v[84:85]
	v_mul_lo_u16_e32 v97, 6, v176
	v_add_co_u32_e32 v96, vcc, s17, v176
	v_lshlrev_b32_e32 v178, 4, v97
	s_barrier
	ds_write_b128 v178, v[48:51]
	ds_write_b128 v178, v[52:55] offset:16
	ds_write_b128 v178, v[56:59] offset:32
	;; [unrolled: 1-line block ×5, first 2 shown]
	v_mul_u32_u24_e32 v48, 6, v96
	v_lshlrev_b32_e32 v179, 4, v48
	v_mul_lo_u16_sdwa v48, v176, s18 dst_sel:DWORD dst_unused:UNUSED_PAD src0_sel:BYTE_0 src1_sel:DWORD
	v_add_f64 v[66:67], v[112:113], v[86:87]
	v_lshrrev_b16_e32 v164, 10, v48
	v_add_f64 v[68:69], v[101:102], v[103:104]
	v_add_f64 v[70:71], v[94:95], v[118:119]
	v_mul_lo_u16_e32 v48, 6, v164
	v_add_f64 v[72:73], v[99:100], v[110:111]
	v_add_f64 v[74:75], v[116:117], v[108:109]
	v_sub_u16_e32 v48, v176, v48
	v_add_f64 v[82:83], v[112:113], -v[86:87]
	v_and_b32_e32 v165, 0xff, v48
	s_movk_i32 s18, 0x50
	v_add_f64 v[84:85], v[101:102], -v[103:104]
	v_add_f64 v[86:87], v[94:95], -v[118:119]
	v_mad_u64_u32 v[60:61], s[20:21], v165, s18, v[128:129]
	v_add_f64 v[92:93], v[99:100], -v[110:111]
	v_add_f64 v[94:95], v[116:117], -v[108:109]
	ds_write_b128 v179, v[64:67]
	ds_write_b128 v179, v[68:71] offset:16
	ds_write_b128 v179, v[72:75] offset:32
	;; [unrolled: 1-line block ×5, first 2 shown]
	s_waitcnt lgkmcnt(0)
	s_barrier
	global_load_dwordx4 v[64:67], v[60:61], off
	global_load_dwordx4 v[56:59], v[60:61], off offset:16
	global_load_dwordx4 v[48:51], v[60:61], off offset:48
	;; [unrolled: 1-line block ×4, first 2 shown]
	v_mul_u32_u24_sdwa v60, v96, s19 dst_sel:DWORD dst_unused:UNUSED_PAD src0_sel:WORD_0 src1_sel:DWORD
	v_lshrrev_b32_e32 v166, 18, v60
	v_mul_lo_u16_e32 v60, 6, v166
	v_sub_u16_e32 v167, v96, v60
	v_mul_lo_u16_e32 v60, 0x50, v167
	v_mov_b32_e32 v97, s11
	v_add_co_u32_e32 v88, vcc, s10, v60
	v_addc_co_u32_e32 v89, vcc, 0, v97, vcc
	global_load_dwordx4 v[84:87], v[88:89], off
	global_load_dwordx4 v[80:83], v[88:89], off offset:16
	global_load_dwordx4 v[76:79], v[88:89], off offset:32
	;; [unrolled: 1-line block ×4, first 2 shown]
	ds_read_b128 v[88:91], v175
	ds_read_b128 v[92:95], v175 offset:3456
	ds_read_b128 v[98:101], v175 offset:6912
	;; [unrolled: 1-line block ×11, first 2 shown]
	s_waitcnt vmcnt(0) lgkmcnt(0)
	s_barrier
	s_mov_b32 s11, 0xe38f
	v_mul_f64 v[126:127], v[100:101], v[66:67]
	v_mul_f64 v[142:143], v[98:99], v[66:67]
	;; [unrolled: 1-line block ×5, first 2 shown]
	v_fma_f64 v[98:99], v[98:99], v[64:65], -v[126:127]
	v_mul_f64 v[126:127], v[114:115], v[54:55]
	v_fma_f64 v[100:101], v[100:101], v[64:65], v[142:143]
	v_mul_f64 v[142:143], v[124:125], v[50:51]
	v_fma_f64 v[106:107], v[106:107], v[56:57], -v[144:145]
	v_mul_f64 v[144:145], v[122:123], v[50:51]
	v_fma_f64 v[108:109], v[108:109], v[56:57], v[146:147]
	v_fma_f64 v[114:115], v[114:115], v[52:53], -v[148:149]
	v_mul_f64 v[146:147], v[136:137], v[74:75]
	v_mul_f64 v[148:149], v[134:135], v[74:75]
	v_fma_f64 v[116:117], v[116:117], v[52:53], v[126:127]
	v_mul_f64 v[126:127], v[104:105], v[86:87]
	v_fma_f64 v[122:123], v[122:123], v[48:49], -v[142:143]
	v_mul_f64 v[142:143], v[102:103], v[86:87]
	v_fma_f64 v[124:125], v[124:125], v[48:49], v[144:145]
	v_mul_f64 v[144:145], v[112:113], v[82:83]
	v_fma_f64 v[134:135], v[134:135], v[72:73], -v[146:147]
	v_fma_f64 v[136:137], v[136:137], v[72:73], v[148:149]
	v_mul_f64 v[146:147], v[110:111], v[82:83]
	v_mul_f64 v[148:149], v[120:121], v[78:79]
	v_fma_f64 v[126:127], v[102:103], v[84:85], -v[126:127]
	v_mul_f64 v[102:103], v[118:119], v[78:79]
	v_fma_f64 v[142:143], v[104:105], v[84:85], v[142:143]
	v_mul_f64 v[104:105], v[132:133], v[70:71]
	v_fma_f64 v[144:145], v[110:111], v[80:81], -v[144:145]
	v_mul_f64 v[110:111], v[130:131], v[70:71]
	v_fma_f64 v[112:113], v[112:113], v[80:81], v[146:147]
	v_fma_f64 v[118:119], v[118:119], v[76:77], -v[148:149]
	v_add_f64 v[146:147], v[106:107], v[122:123]
	v_fma_f64 v[120:121], v[120:121], v[76:77], v[102:103]
	v_add_f64 v[102:103], v[114:115], v[134:135]
	v_add_f64 v[148:149], v[116:117], v[136:137]
	v_fma_f64 v[130:131], v[130:131], v[68:69], -v[104:105]
	v_mul_f64 v[104:105], v[140:141], v[62:63]
	v_fma_f64 v[132:133], v[132:133], v[68:69], v[110:111]
	v_add_f64 v[110:111], v[88:89], v[106:107]
	v_fma_f64 v[88:89], v[146:147], -0.5, v[88:89]
	v_add_f64 v[146:147], v[108:109], -v[124:125]
	v_fma_f64 v[102:103], v[102:103], -0.5, v[98:99]
	v_fma_f64 v[148:149], v[148:149], -0.5, v[100:101]
	v_add_f64 v[150:151], v[114:115], -v[134:135]
	v_add_f64 v[152:153], v[116:117], -v[136:137]
	v_fma_f64 v[154:155], v[138:139], v[60:61], -v[104:105]
	v_mul_f64 v[104:105], v[138:139], v[62:63]
	v_add_f64 v[138:139], v[108:109], v[124:125]
	v_fma_f64 v[156:157], v[146:147], s[6:7], v[88:89]
	v_fma_f64 v[146:147], v[146:147], s[8:9], v[88:89]
	v_add_f64 v[108:109], v[90:91], v[108:109]
	v_fma_f64 v[88:89], v[150:151], s[8:9], v[148:149]
	v_fma_f64 v[158:159], v[152:153], s[8:9], v[102:103]
	v_add_f64 v[110:111], v[110:111], v[122:123]
	v_fma_f64 v[102:103], v[152:153], s[6:7], v[102:103]
	v_fma_f64 v[90:91], v[138:139], -0.5, v[90:91]
	v_fma_f64 v[138:139], v[150:151], s[6:7], v[148:149]
	v_add_f64 v[106:107], v[106:107], -v[122:123]
	v_add_f64 v[98:99], v[98:99], v[114:115]
	v_mul_f64 v[114:115], v[88:89], s[6:7]
	v_mul_f64 v[122:123], v[158:159], -0.5
	v_add_f64 v[108:109], v[108:109], v[124:125]
	v_fma_f64 v[140:141], v[140:141], v[60:61], v[104:105]
	v_add_f64 v[100:101], v[100:101], v[116:117]
	v_mul_f64 v[124:125], v[138:139], -0.5
	v_mul_f64 v[116:117], v[102:103], s[8:9]
	v_add_f64 v[134:135], v[98:99], v[134:135]
	v_fma_f64 v[114:115], v[102:103], 0.5, v[114:115]
	v_fma_f64 v[122:123], v[138:139], s[6:7], v[122:123]
	v_add_f64 v[152:153], v[118:119], v[154:155]
	v_add_f64 v[150:151], v[144:145], v[130:131]
	v_fma_f64 v[148:149], v[106:107], s[8:9], v[90:91]
	v_fma_f64 v[124:125], v[158:159], s[8:9], v[124:125]
	v_add_f64 v[158:159], v[120:121], v[140:141]
	v_add_f64 v[136:137], v[100:101], v[136:137]
	v_fma_f64 v[116:117], v[88:89], 0.5, v[116:117]
	v_fma_f64 v[138:139], v[106:107], s[6:7], v[90:91]
	v_add_f64 v[88:89], v[110:111], v[134:135]
	v_add_f64 v[98:99], v[156:157], v[114:115]
	;; [unrolled: 1-line block ×3, first 2 shown]
	v_add_f64 v[106:107], v[110:111], -v[134:135]
	v_add_f64 v[110:111], v[156:157], -v[114:115]
	;; [unrolled: 1-line block ×3, first 2 shown]
	v_add_f64 v[122:123], v[92:93], v[144:145]
	v_fma_f64 v[146:147], v[152:153], -0.5, v[126:127]
	v_add_f64 v[156:157], v[120:121], -v[140:141]
	v_fma_f64 v[92:93], v[150:151], -0.5, v[92:93]
	v_add_f64 v[134:135], v[112:113], -v[132:133]
	v_fma_f64 v[150:151], v[158:159], -0.5, v[142:143]
	v_add_f64 v[152:153], v[118:119], -v[154:155]
	v_add_f64 v[90:91], v[108:109], v[136:137]
	v_add_f64 v[158:159], v[112:113], v[132:133]
	v_add_f64 v[108:109], v[108:109], -v[136:137]
	v_add_f64 v[136:137], v[122:123], v[130:131]
	v_add_f64 v[112:113], v[94:95], v[112:113]
	v_fma_f64 v[122:123], v[156:157], s[8:9], v[146:147]
	v_fma_f64 v[160:161], v[134:135], s[6:7], v[92:93]
	;; [unrolled: 1-line block ×6, first 2 shown]
	v_fma_f64 v[94:95], v[158:159], -0.5, v[94:95]
	v_add_f64 v[132:133], v[112:113], v[132:133]
	v_add_f64 v[112:113], v[126:127], v[118:119]
	v_mul_f64 v[126:127], v[122:123], -0.5
	v_add_f64 v[130:131], v[144:145], -v[130:131]
	v_add_f64 v[120:121], v[142:143], v[120:121]
	v_mul_f64 v[118:119], v[92:93], s[6:7]
	v_mul_f64 v[142:143], v[134:135], s[8:9]
	v_mul_f64 v[144:145], v[146:147], -0.5
	v_add_f64 v[100:101], v[148:149], v[116:117]
	v_add_f64 v[104:105], v[138:139], v[124:125]
	v_fma_f64 v[126:127], v[146:147], s[6:7], v[126:127]
	v_fma_f64 v[150:151], v[130:131], s[8:9], v[94:95]
	;; [unrolled: 1-line block ×3, first 2 shown]
	v_add_f64 v[130:131], v[112:113], v[154:155]
	v_add_f64 v[140:141], v[120:121], v[140:141]
	v_fma_f64 v[134:135], v[134:135], 0.5, v[118:119]
	v_fma_f64 v[142:143], v[92:93], 0.5, v[142:143]
	v_add_f64 v[112:113], v[148:149], -v[116:117]
	v_fma_f64 v[144:145], v[122:123], s[8:9], v[144:145]
	v_add_f64 v[116:117], v[138:139], -v[124:125]
	v_add_f64 v[122:123], v[162:163], v[126:127]
	v_add_f64 v[138:139], v[162:163], -v[126:127]
	v_mul_u32_u24_e32 v126, 36, v164
	v_add_lshl_u32 v180, v126, v165, 4
	ds_write_b128 v180, v[88:91]
	ds_write_b128 v180, v[98:101] offset:96
	ds_write_b128 v180, v[102:105] offset:192
	;; [unrolled: 1-line block ×5, first 2 shown]
	v_mad_legacy_u16 v88, v166, 36, v167
	v_lshlrev_b32_e32 v181, 4, v88
	v_mov_b32_e32 v88, 57
	v_mul_lo_u16_sdwa v88, v176, v88 dst_sel:DWORD dst_unused:UNUSED_PAD src0_sel:BYTE_0 src1_sel:DWORD
	v_add_f64 v[92:93], v[136:137], v[130:131]
	v_add_f64 v[94:95], v[132:133], v[140:141]
	v_lshrrev_b16_e32 v210, 11, v88
	v_add_f64 v[118:119], v[160:161], v[134:135]
	v_add_f64 v[120:121], v[150:151], v[142:143]
	v_mul_lo_u16_e32 v88, 36, v210
	v_add_f64 v[124:125], v[152:153], v[144:145]
	v_sub_u16_e32 v88, v176, v88
	v_add_f64 v[130:131], v[136:137], -v[130:131]
	v_add_f64 v[132:133], v[132:133], -v[140:141]
	v_and_b32_e32 v211, 0xff, v88
	v_add_f64 v[134:135], v[160:161], -v[134:135]
	v_add_f64 v[136:137], v[150:151], -v[142:143]
	v_mad_u64_u32 v[98:99], s[20:21], v211, s18, v[128:129]
	v_add_f64 v[140:141], v[152:153], -v[144:145]
	ds_write_b128 v181, v[92:95]
	ds_write_b128 v181, v[118:121] offset:96
	ds_write_b128 v181, v[122:125] offset:192
	;; [unrolled: 1-line block ×5, first 2 shown]
	s_waitcnt lgkmcnt(0)
	s_barrier
	global_load_dwordx4 v[104:107], v[98:99], off offset:480
	global_load_dwordx4 v[100:103], v[98:99], off offset:496
	global_load_dwordx4 v[92:95], v[98:99], off offset:512
	global_load_dwordx4 v[88:91], v[98:99], off offset:528
	global_load_dwordx4 v[112:115], v[98:99], off offset:544
	v_mul_u32_u24_sdwa v98, v96, s11 dst_sel:DWORD dst_unused:UNUSED_PAD src0_sel:WORD_0 src1_sel:DWORD
	v_lshrrev_b32_e32 v212, 21, v98
	v_mul_lo_u16_e32 v98, 36, v212
	v_sub_u16_e32 v213, v96, v98
	v_mul_lo_u16_e32 v96, 0x50, v213
	v_add_co_u32_e32 v96, vcc, s10, v96
	v_addc_co_u32_e32 v97, vcc, 0, v97, vcc
	global_load_dwordx4 v[124:127], v[96:97], off offset:480
	global_load_dwordx4 v[120:123], v[96:97], off offset:496
	global_load_dwordx4 v[116:119], v[96:97], off offset:512
	global_load_dwordx4 v[108:111], v[96:97], off offset:528
	s_nop 0
	global_load_dwordx4 v[96:99], v[96:97], off offset:544
	ds_read_b128 v[130:133], v175
	ds_read_b128 v[134:137], v175 offset:3456
	ds_read_b128 v[138:141], v175 offset:6912
	;; [unrolled: 1-line block ×11, first 2 shown]
	s_waitcnt vmcnt(0) lgkmcnt(0)
	s_barrier
	v_mul_f64 v[170:171], v[140:141], v[106:107]
	v_mul_f64 v[190:191], v[138:139], v[106:107]
	;; [unrolled: 1-line block ×5, first 2 shown]
	v_fma_f64 v[138:139], v[138:139], v[104:105], -v[170:171]
	v_mul_f64 v[170:171], v[154:155], v[94:95]
	v_fma_f64 v[140:141], v[140:141], v[104:105], v[190:191]
	v_mul_f64 v[190:191], v[164:165], v[90:91]
	v_fma_f64 v[146:147], v[146:147], v[100:101], -v[192:193]
	v_mul_f64 v[192:193], v[162:163], v[90:91]
	v_fma_f64 v[148:149], v[148:149], v[100:101], v[194:195]
	v_fma_f64 v[154:155], v[154:155], v[92:93], -v[196:197]
	v_mul_f64 v[194:195], v[184:185], v[114:115]
	v_mul_f64 v[196:197], v[182:183], v[114:115]
	v_fma_f64 v[156:157], v[156:157], v[92:93], v[170:171]
	v_mul_f64 v[170:171], v[144:145], v[126:127]
	v_fma_f64 v[162:163], v[162:163], v[88:89], -v[190:191]
	v_mul_f64 v[190:191], v[142:143], v[126:127]
	v_fma_f64 v[164:165], v[164:165], v[88:89], v[192:193]
	v_mul_f64 v[192:193], v[152:153], v[122:123]
	v_fma_f64 v[182:183], v[182:183], v[112:113], -v[194:195]
	v_fma_f64 v[184:185], v[184:185], v[112:113], v[196:197]
	v_mul_f64 v[194:195], v[150:151], v[122:123]
	v_mul_f64 v[196:197], v[160:161], v[118:119]
	v_fma_f64 v[170:171], v[142:143], v[124:125], -v[170:171]
	v_mul_f64 v[142:143], v[158:159], v[118:119]
	v_fma_f64 v[190:191], v[144:145], v[124:125], v[190:191]
	v_mul_f64 v[144:145], v[168:169], v[110:111]
	v_fma_f64 v[192:193], v[150:151], v[120:121], -v[192:193]
	v_mul_f64 v[150:151], v[166:167], v[110:111]
	v_fma_f64 v[152:153], v[152:153], v[120:121], v[194:195]
	v_fma_f64 v[158:159], v[158:159], v[116:117], -v[196:197]
	v_add_f64 v[194:195], v[146:147], v[162:163]
	v_fma_f64 v[160:161], v[160:161], v[116:117], v[142:143]
	v_add_f64 v[142:143], v[154:155], v[182:183]
	v_add_f64 v[196:197], v[156:157], v[184:185]
	v_fma_f64 v[166:167], v[166:167], v[108:109], -v[144:145]
	v_mul_f64 v[144:145], v[188:189], v[98:99]
	v_fma_f64 v[168:169], v[168:169], v[108:109], v[150:151]
	v_add_f64 v[150:151], v[130:131], v[146:147]
	v_fma_f64 v[130:131], v[194:195], -0.5, v[130:131]
	v_add_f64 v[194:195], v[148:149], -v[164:165]
	v_fma_f64 v[142:143], v[142:143], -0.5, v[138:139]
	v_fma_f64 v[196:197], v[196:197], -0.5, v[140:141]
	v_add_f64 v[198:199], v[154:155], -v[182:183]
	v_add_f64 v[200:201], v[156:157], -v[184:185]
	v_fma_f64 v[202:203], v[186:187], v[96:97], -v[144:145]
	v_mul_f64 v[144:145], v[186:187], v[98:99]
	v_add_f64 v[186:187], v[148:149], v[164:165]
	v_fma_f64 v[204:205], v[194:195], s[6:7], v[130:131]
	v_fma_f64 v[194:195], v[194:195], s[8:9], v[130:131]
	v_add_f64 v[148:149], v[132:133], v[148:149]
	v_fma_f64 v[130:131], v[198:199], s[8:9], v[196:197]
	v_fma_f64 v[206:207], v[200:201], s[8:9], v[142:143]
	v_add_f64 v[150:151], v[150:151], v[162:163]
	v_fma_f64 v[142:143], v[200:201], s[6:7], v[142:143]
	v_fma_f64 v[132:133], v[186:187], -0.5, v[132:133]
	v_fma_f64 v[186:187], v[198:199], s[6:7], v[196:197]
	v_add_f64 v[146:147], v[146:147], -v[162:163]
	v_add_f64 v[138:139], v[138:139], v[154:155]
	v_mul_f64 v[154:155], v[130:131], s[6:7]
	v_mul_f64 v[162:163], v[206:207], -0.5
	v_add_f64 v[148:149], v[148:149], v[164:165]
	v_fma_f64 v[188:189], v[188:189], v[96:97], v[144:145]
	v_add_f64 v[140:141], v[140:141], v[156:157]
	v_mul_f64 v[164:165], v[186:187], -0.5
	v_mul_f64 v[156:157], v[142:143], s[8:9]
	v_add_f64 v[182:183], v[138:139], v[182:183]
	v_fma_f64 v[154:155], v[142:143], 0.5, v[154:155]
	v_fma_f64 v[162:163], v[186:187], s[6:7], v[162:163]
	v_add_f64 v[200:201], v[158:159], v[202:203]
	v_add_f64 v[198:199], v[192:193], v[166:167]
	v_fma_f64 v[196:197], v[146:147], s[8:9], v[132:133]
	v_fma_f64 v[164:165], v[206:207], s[8:9], v[164:165]
	v_add_f64 v[206:207], v[160:161], v[188:189]
	v_add_f64 v[184:185], v[140:141], v[184:185]
	v_fma_f64 v[156:157], v[130:131], 0.5, v[156:157]
	v_fma_f64 v[186:187], v[146:147], s[6:7], v[132:133]
	v_add_f64 v[130:131], v[150:151], v[182:183]
	v_add_f64 v[138:139], v[204:205], v[154:155]
	;; [unrolled: 1-line block ×3, first 2 shown]
	v_add_f64 v[146:147], v[150:151], -v[182:183]
	v_add_f64 v[150:151], v[204:205], -v[154:155]
	;; [unrolled: 1-line block ×3, first 2 shown]
	v_add_f64 v[162:163], v[134:135], v[192:193]
	v_fma_f64 v[194:195], v[200:201], -0.5, v[170:171]
	v_add_f64 v[204:205], v[160:161], -v[188:189]
	v_fma_f64 v[134:135], v[198:199], -0.5, v[134:135]
	v_add_f64 v[182:183], v[152:153], -v[168:169]
	;; [unrolled: 2-line block ×3, first 2 shown]
	v_add_f64 v[132:133], v[148:149], v[184:185]
	v_add_f64 v[206:207], v[152:153], v[168:169]
	v_add_f64 v[148:149], v[148:149], -v[184:185]
	v_add_f64 v[184:185], v[162:163], v[166:167]
	v_add_f64 v[152:153], v[136:137], v[152:153]
	v_fma_f64 v[162:163], v[204:205], s[8:9], v[194:195]
	v_fma_f64 v[208:209], v[182:183], s[6:7], v[134:135]
	;; [unrolled: 1-line block ×6, first 2 shown]
	v_fma_f64 v[136:137], v[206:207], -0.5, v[136:137]
	v_add_f64 v[166:167], v[192:193], -v[166:167]
	v_add_f64 v[168:169], v[152:153], v[168:169]
	v_add_f64 v[152:153], v[170:171], v[158:159]
	v_mul_f64 v[170:171], v[162:163], -0.5
	v_add_f64 v[160:161], v[190:191], v[160:161]
	v_mul_f64 v[158:159], v[134:135], s[6:7]
	v_mul_f64 v[190:191], v[194:195], s[8:9]
	v_mul_f64 v[192:193], v[198:199], -0.5
	v_fma_f64 v[200:201], v[166:167], s[8:9], v[136:137]
	v_fma_f64 v[204:205], v[166:167], s[6:7], v[136:137]
	v_add_f64 v[166:167], v[152:153], v[202:203]
	v_fma_f64 v[170:171], v[198:199], s[6:7], v[170:171]
	v_add_f64 v[198:199], v[160:161], v[188:189]
	v_fma_f64 v[194:195], v[194:195], 0.5, v[158:159]
	v_fma_f64 v[190:191], v[134:135], 0.5, v[190:191]
	v_fma_f64 v[192:193], v[162:163], s[8:9], v[192:193]
	v_add_f64 v[140:141], v[196:197], v[156:157]
	v_add_f64 v[144:145], v[186:187], v[164:165]
	v_add_f64 v[152:153], v[196:197], -v[156:157]
	v_add_f64 v[134:135], v[184:185], v[166:167]
	v_add_f64 v[136:137], v[168:169], v[198:199]
	v_add_f64 v[156:157], v[186:187], -v[164:165]
	v_add_f64 v[158:159], v[208:209], v[194:195]
	v_add_f64 v[160:161], v[200:201], v[190:191]
	;; [unrolled: 1-line block ×4, first 2 shown]
	v_add_f64 v[188:189], v[182:183], -v[170:171]
	v_mul_u32_u24_e32 v170, 0xd8, v210
	v_add_f64 v[166:167], v[184:185], -v[166:167]
	v_add_f64 v[168:169], v[168:169], -v[198:199]
	v_add_lshl_u32 v182, v170, v211, 4
	v_add_f64 v[184:185], v[208:209], -v[194:195]
	v_add_f64 v[186:187], v[200:201], -v[190:191]
	ds_write_b128 v182, v[130:133]
	ds_write_b128 v182, v[138:141] offset:576
	ds_write_b128 v182, v[142:145] offset:1152
	ds_write_b128 v182, v[146:149] offset:1728
	ds_write_b128 v182, v[150:153] offset:2304
	ds_write_b128 v182, v[154:157] offset:2880
	v_mad_u64_u32 v[148:149], s[10:11], v176, s18, v[128:129]
	v_add_f64 v[190:191], v[204:205], -v[192:193]
	v_mad_legacy_u16 v130, v212, s17, v213
	v_lshlrev_b32_e32 v183, 4, v130
	ds_write_b128 v183, v[134:137]
	ds_write_b128 v183, v[158:161] offset:576
	ds_write_b128 v183, v[162:165] offset:1152
	;; [unrolled: 1-line block ×5, first 2 shown]
	s_waitcnt lgkmcnt(0)
	s_barrier
	global_load_dwordx4 v[144:147], v[148:149], off offset:3360
	global_load_dwordx4 v[140:143], v[148:149], off offset:3376
	;; [unrolled: 1-line block ×5, first 2 shown]
	ds_read_b128 v[150:153], v175
	ds_read_b128 v[154:157], v175 offset:3456
	ds_read_b128 v[158:161], v175 offset:6912
	;; [unrolled: 1-line block ×11, first 2 shown]
	s_waitcnt vmcnt(0) lgkmcnt(0)
	s_barrier
	s_mov_b32 s10, 0xa000
	v_mul_f64 v[170:171], v[160:161], v[146:147]
	v_mul_f64 v[212:213], v[158:159], v[146:147]
	;; [unrolled: 1-line block ×5, first 2 shown]
	v_fma_f64 v[158:159], v[158:159], v[144:145], -v[170:171]
	v_fma_f64 v[160:161], v[160:161], v[144:145], v[212:213]
	v_mul_f64 v[170:171], v[188:189], v[138:139]
	v_mul_f64 v[212:213], v[198:199], v[134:135]
	v_fma_f64 v[166:167], v[166:167], v[140:141], -v[214:215]
	v_mul_f64 v[214:215], v[196:197], v[134:135]
	v_fma_f64 v[168:169], v[168:169], v[140:141], v[216:217]
	v_fma_f64 v[188:189], v[188:189], v[136:137], -v[218:219]
	v_mul_f64 v[216:217], v[206:207], v[130:131]
	v_mul_f64 v[218:219], v[204:205], v[130:131]
	v_fma_f64 v[170:171], v[190:191], v[136:137], v[170:171]
	v_fma_f64 v[190:191], v[196:197], v[132:133], -v[212:213]
	v_mul_f64 v[196:197], v[164:165], v[146:147]
	v_mul_f64 v[212:213], v[162:163], v[146:147]
	v_fma_f64 v[198:199], v[198:199], v[132:133], v[214:215]
	v_mul_f64 v[214:215], v[186:187], v[142:143]
	v_fma_f64 v[204:205], v[204:205], v[128:129], -v[216:217]
	v_fma_f64 v[206:207], v[206:207], v[128:129], v[218:219]
	v_mul_f64 v[216:217], v[184:185], v[142:143]
	v_mul_f64 v[218:219], v[194:195], v[138:139]
	v_fma_f64 v[196:197], v[162:163], v[144:145], -v[196:197]
	v_mul_f64 v[162:163], v[192:193], v[138:139]
	v_fma_f64 v[212:213], v[164:165], v[144:145], v[212:213]
	v_mul_f64 v[164:165], v[202:203], v[134:135]
	v_fma_f64 v[214:215], v[184:185], v[140:141], -v[214:215]
	v_mul_f64 v[184:185], v[200:201], v[134:135]
	v_fma_f64 v[186:187], v[186:187], v[140:141], v[216:217]
	v_fma_f64 v[192:193], v[192:193], v[136:137], -v[218:219]
	v_add_f64 v[216:217], v[166:167], v[190:191]
	v_fma_f64 v[194:195], v[194:195], v[136:137], v[162:163]
	v_add_f64 v[162:163], v[188:189], v[204:205]
	v_add_f64 v[218:219], v[170:171], v[206:207]
	v_fma_f64 v[200:201], v[200:201], v[132:133], -v[164:165]
	v_mul_f64 v[164:165], v[210:211], v[130:131]
	v_fma_f64 v[202:203], v[202:203], v[132:133], v[184:185]
	v_add_f64 v[184:185], v[150:151], v[166:167]
	v_fma_f64 v[150:151], v[216:217], -0.5, v[150:151]
	v_add_f64 v[216:217], v[168:169], -v[198:199]
	v_fma_f64 v[162:163], v[162:163], -0.5, v[158:159]
	v_fma_f64 v[218:219], v[218:219], -0.5, v[160:161]
	v_add_f64 v[220:221], v[188:189], -v[204:205]
	v_add_f64 v[222:223], v[170:171], -v[206:207]
	v_fma_f64 v[224:225], v[208:209], v[128:129], -v[164:165]
	v_mul_f64 v[164:165], v[208:209], v[130:131]
	v_add_f64 v[208:209], v[168:169], v[198:199]
	v_fma_f64 v[226:227], v[216:217], s[6:7], v[150:151]
	v_fma_f64 v[216:217], v[216:217], s[8:9], v[150:151]
	v_add_f64 v[168:169], v[152:153], v[168:169]
	v_fma_f64 v[150:151], v[220:221], s[8:9], v[218:219]
	v_fma_f64 v[228:229], v[222:223], s[8:9], v[162:163]
	v_add_f64 v[184:185], v[184:185], v[190:191]
	v_fma_f64 v[162:163], v[222:223], s[6:7], v[162:163]
	v_fma_f64 v[152:153], v[208:209], -0.5, v[152:153]
	v_fma_f64 v[208:209], v[220:221], s[6:7], v[218:219]
	v_add_f64 v[166:167], v[166:167], -v[190:191]
	v_add_f64 v[158:159], v[158:159], v[188:189]
	v_mul_f64 v[188:189], v[150:151], s[6:7]
	v_mul_f64 v[190:191], v[228:229], -0.5
	v_add_f64 v[168:169], v[168:169], v[198:199]
	v_fma_f64 v[210:211], v[210:211], v[128:129], v[164:165]
	v_add_f64 v[160:161], v[160:161], v[170:171]
	v_mul_f64 v[198:199], v[208:209], -0.5
	v_mul_f64 v[170:171], v[162:163], s[8:9]
	v_add_f64 v[204:205], v[158:159], v[204:205]
	v_fma_f64 v[188:189], v[162:163], 0.5, v[188:189]
	v_fma_f64 v[190:191], v[208:209], s[6:7], v[190:191]
	v_add_f64 v[220:221], v[214:215], v[200:201]
	v_add_f64 v[222:223], v[192:193], v[224:225]
	v_fma_f64 v[218:219], v[166:167], s[8:9], v[152:153]
	v_fma_f64 v[198:199], v[228:229], s[8:9], v[198:199]
	v_add_f64 v[228:229], v[194:195], v[210:211]
	v_fma_f64 v[170:171], v[150:151], 0.5, v[170:171]
	v_fma_f64 v[208:209], v[166:167], s[6:7], v[152:153]
	v_add_f64 v[150:151], v[184:185], v[204:205]
	v_add_f64 v[158:159], v[226:227], v[188:189]
	;; [unrolled: 1-line block ×3, first 2 shown]
	v_add_f64 v[166:167], v[184:185], -v[204:205]
	v_add_f64 v[184:185], v[226:227], -v[188:189]
	;; [unrolled: 1-line block ×3, first 2 shown]
	v_add_f64 v[190:191], v[154:155], v[214:215]
	v_fma_f64 v[154:155], v[220:221], -0.5, v[154:155]
	v_add_f64 v[204:205], v[186:187], -v[202:203]
	v_fma_f64 v[216:217], v[222:223], -0.5, v[196:197]
	v_fma_f64 v[220:221], v[228:229], -0.5, v[212:213]
	v_add_f64 v[222:223], v[192:193], -v[224:225]
	v_add_f64 v[226:227], v[194:195], -v[210:211]
	v_add_f64 v[206:207], v[160:161], v[206:207]
	v_add_f64 v[228:229], v[186:187], v[202:203]
	;; [unrolled: 1-line block ×3, first 2 shown]
	v_fma_f64 v[230:231], v[204:205], s[6:7], v[154:155]
	v_fma_f64 v[232:233], v[204:205], s[8:9], v[154:155]
	v_add_f64 v[194:195], v[212:213], v[194:195]
	v_fma_f64 v[154:155], v[222:223], s[8:9], v[220:221]
	v_fma_f64 v[204:205], v[226:227], s[6:7], v[216:217]
	v_add_f64 v[152:153], v[168:169], v[206:207]
	v_add_f64 v[168:169], v[168:169], -v[206:207]
	v_add_f64 v[206:207], v[190:191], v[200:201]
	v_fma_f64 v[190:191], v[226:227], s[8:9], v[216:217]
	v_fma_f64 v[216:217], v[222:223], s[6:7], v[220:221]
	v_fma_f64 v[156:157], v[228:229], -0.5, v[156:157]
	v_add_f64 v[200:201], v[214:215], -v[200:201]
	v_add_f64 v[202:203], v[186:187], v[202:203]
	v_add_f64 v[186:187], v[196:197], v[192:193]
	v_mul_f64 v[192:193], v[154:155], s[6:7]
	v_mul_f64 v[212:213], v[204:205], s[8:9]
	v_mul_f64 v[196:197], v[190:191], -0.5
	v_mul_f64 v[214:215], v[216:217], -0.5
	v_add_f64 v[210:211], v[194:195], v[210:211]
	v_fma_f64 v[220:221], v[200:201], s[8:9], v[156:157]
	v_fma_f64 v[222:223], v[200:201], s[6:7], v[156:157]
	v_add_f64 v[200:201], v[186:187], v[224:225]
	v_fma_f64 v[204:205], v[204:205], 0.5, v[192:193]
	v_fma_f64 v[212:213], v[154:155], 0.5, v[212:213]
	v_fma_f64 v[216:217], v[216:217], s[6:7], v[196:197]
	v_fma_f64 v[214:215], v[190:191], s[8:9], v[214:215]
	v_add_f64 v[160:161], v[218:219], v[170:171]
	v_add_f64 v[164:165], v[208:209], v[198:199]
	v_add_f64 v[186:187], v[218:219], -v[170:171]
	v_add_f64 v[190:191], v[208:209], -v[198:199]
	v_add_f64 v[154:155], v[206:207], v[200:201]
	v_add_f64 v[156:157], v[202:203], v[210:211]
	;; [unrolled: 1-line block ×6, first 2 shown]
	v_add_f64 v[200:201], v[206:207], -v[200:201]
	v_add_f64 v[204:205], v[230:231], -v[204:205]
	;; [unrolled: 1-line block ×6, first 2 shown]
	ds_write_b128 v175, v[150:153]
	ds_write_b128 v175, v[158:161] offset:3456
	ds_write_b128 v175, v[162:165] offset:6912
	;; [unrolled: 1-line block ×11, first 2 shown]
	v_lshlrev_b32_e32 v150, 6, v176
	v_sub_co_u32_e32 v168, vcc, v148, v150
	v_subbrev_co_u32_e32 v169, vcc, 0, v149, vcc
	v_add_co_u32_e32 v152, vcc, s14, v168
	v_addc_co_u32_e32 v153, vcc, 0, v169, vcc
	s_waitcnt lgkmcnt(0)
	s_barrier
	global_load_dwordx4 v[148:151], v[152:153], off offset:160
	s_nop 0
	global_load_dwordx4 v[152:155], v[152:153], off offset:3616
	v_add_co_u32_e32 v156, vcc, s15, v168
	v_addc_co_u32_e32 v157, vcc, 0, v169, vcc
	v_add_co_u32_e32 v160, vcc, s12, v168
	v_addc_co_u32_e32 v161, vcc, 0, v169, vcc
	global_load_dwordx4 v[164:167], v[160:161], off offset:2336
	v_add_co_u32_e32 v160, vcc, s16, v168
	global_load_dwordx4 v[156:159], v[156:157], off offset:2976
	v_addc_co_u32_e32 v161, vcc, 0, v169, vcc
	global_load_dwordx4 v[160:163], v[160:161], off offset:1696
	v_add_co_u32_e32 v168, vcc, s13, v168
	v_addc_co_u32_e32 v169, vcc, 0, v169, vcc
	global_load_dwordx4 v[168:171], v[168:169], off offset:1056
	ds_read_b128 v[184:187], v175
	ds_read_b128 v[188:191], v175 offset:3456
	ds_read_b128 v[192:195], v175 offset:20736
	;; [unrolled: 1-line block ×10, first 2 shown]
	s_waitcnt vmcnt(5) lgkmcnt(8)
	v_mul_f64 v[228:229], v[194:195], v[150:151]
	v_mul_f64 v[230:231], v[192:193], v[150:151]
	s_waitcnt vmcnt(4) lgkmcnt(7)
	v_mul_f64 v[232:233], v[198:199], v[154:155]
	v_mul_f64 v[234:235], v[196:197], v[154:155]
	v_fma_f64 v[228:229], v[192:193], v[148:149], -v[228:229]
	v_fma_f64 v[230:231], v[194:195], v[148:149], v[230:231]
	s_waitcnt vmcnt(3) lgkmcnt(3)
	v_mul_f64 v[240:241], v[214:215], v[166:167]
	v_mul_f64 v[242:243], v[212:213], v[166:167]
	ds_read_b128 v[192:195], v175 offset:38016
	s_waitcnt vmcnt(2)
	v_mul_f64 v[236:237], v[210:211], v[158:159]
	v_mul_f64 v[238:239], v[208:209], v[158:159]
	v_fma_f64 v[232:233], v[196:197], v[152:153], -v[232:233]
	v_fma_f64 v[234:235], v[198:199], v[152:153], v[234:235]
	v_add_f64 v[196:197], v[184:185], -v[228:229]
	v_fma_f64 v[212:213], v[212:213], v[164:165], -v[240:241]
	v_fma_f64 v[214:215], v[214:215], v[164:165], v[242:243]
	s_waitcnt vmcnt(1) lgkmcnt(1)
	v_mul_f64 v[240:241], v[226:227], v[162:163]
	v_mul_f64 v[242:243], v[224:225], v[162:163]
	s_waitcnt vmcnt(0) lgkmcnt(0)
	v_mul_f64 v[244:245], v[194:195], v[170:171]
	v_mul_f64 v[246:247], v[192:193], v[170:171]
	v_fma_f64 v[236:237], v[208:209], v[156:157], -v[236:237]
	v_fma_f64 v[238:239], v[210:211], v[156:157], v[238:239]
	v_add_f64 v[198:199], v[186:187], -v[230:231]
	v_add_f64 v[208:209], v[188:189], -v[232:233]
	v_fma_f64 v[224:225], v[224:225], v[160:161], -v[240:241]
	v_fma_f64 v[226:227], v[226:227], v[160:161], v[242:243]
	v_fma_f64 v[228:229], v[192:193], v[168:169], -v[244:245]
	v_fma_f64 v[230:231], v[194:195], v[168:169], v[246:247]
	v_add_f64 v[210:211], v[190:191], -v[234:235]
	v_add_f64 v[192:193], v[200:201], -v[236:237]
	;; [unrolled: 1-line block ×5, first 2 shown]
	v_fma_f64 v[184:185], v[184:185], 2.0, -v[196:197]
	v_fma_f64 v[186:187], v[186:187], 2.0, -v[198:199]
	v_add_f64 v[224:225], v[216:217], -v[224:225]
	v_add_f64 v[226:227], v[218:219], -v[226:227]
	v_add_f64 v[228:229], v[220:221], -v[228:229]
	v_add_f64 v[230:231], v[222:223], -v[230:231]
	v_fma_f64 v[188:189], v[188:189], 2.0, -v[208:209]
	v_fma_f64 v[190:191], v[190:191], 2.0, -v[210:211]
	;; [unrolled: 1-line block ×10, first 2 shown]
	ds_write_b128 v175, v[184:187]
	ds_write_b128 v175, v[196:199] offset:20736
	ds_write_b128 v175, v[188:191] offset:3456
	ds_write_b128 v175, v[208:211] offset:24192
	ds_write_b128 v175, v[200:203] offset:6912
	ds_write_b128 v175, v[192:195] offset:27648
	ds_write_b128 v175, v[204:207] offset:10368
	ds_write_b128 v175, v[212:215] offset:31104
	ds_write_b128 v175, v[216:219] offset:13824
	ds_write_b128 v175, v[224:227] offset:34560
	ds_write_b128 v175, v[220:223] offset:17280
	ds_write_b128 v175, v[228:231] offset:38016
	v_add_co_u32_e32 v184, vcc, s10, v173
	v_addc_co_u32_e32 v185, vcc, 0, v174, vcc
	s_waitcnt lgkmcnt(0)
	s_barrier
	global_load_dwordx4 v[184:187], v[184:185], off offset:512
	s_mov_b32 s10, 0xb000
	v_add_co_u32_e32 v188, vcc, s10, v173
	v_addc_co_u32_e32 v189, vcc, 0, v174, vcc
	global_load_dwordx4 v[188:191], v[188:189], off offset:3328
	s_mov_b32 s10, 0xd000
	v_add_co_u32_e32 v192, vcc, s10, v173
	v_addc_co_u32_e32 v193, vcc, 0, v174, vcc
	;; [unrolled: 4-line block ×6, first 2 shown]
	global_load_dwordx4 v[216:219], v[216:217], off offset:3456
	ds_read_b128 v[208:211], v175
	ds_read_b128 v[212:215], v175 offset:6912
	s_mov_b32 s10, 0xc000
	v_add_co_u32_e32 v220, vcc, s10, v173
	v_addc_co_u32_e32 v221, vcc, 0, v174, vcc
	global_load_dwordx4 v[220:223], v[220:221], off offset:2688
	s_mov_b32 s10, 0xe000
	ds_read_b128 v[236:239], v175 offset:13824
	s_waitcnt vmcnt(7) lgkmcnt(2)
	v_mul_f64 v[226:227], v[210:211], v[186:187]
	v_mul_f64 v[186:187], v[208:209], v[186:187]
	v_fma_f64 v[208:209], v[208:209], v[184:185], -v[226:227]
	v_fma_f64 v[210:211], v[210:211], v[184:185], v[186:187]
	global_load_dwordx4 v[184:187], v[224:225], off offset:128
	v_add_co_u32_e32 v224, vcc, s10, v173
	v_addc_co_u32_e32 v225, vcc, 0, v174, vcc
	global_load_dwordx4 v[224:227], v[224:225], off offset:1408
	s_mov_b32 s10, 0x11000
	v_add_co_u32_e32 v228, vcc, s10, v173
	v_addc_co_u32_e32 v229, vcc, 0, v174, vcc
	global_load_dwordx4 v[228:231], v[228:229], off offset:2944
	s_mov_b32 s10, 0x13000
	v_add_co_u32_e32 v173, vcc, s10, v173
	v_addc_co_u32_e32 v174, vcc, 0, v174, vcc
	global_load_dwordx4 v[232:235], v[173:174], off offset:1664
	s_waitcnt vmcnt(10) lgkmcnt(1)
	v_mul_f64 v[240:241], v[214:215], v[190:191]
	v_mul_f64 v[190:191], v[212:213], v[190:191]
	ds_write_b128 v175, v[208:211]
	ds_read_b128 v[208:211], v175 offset:24192
	v_fma_f64 v[212:213], v[212:213], v[188:189], -v[240:241]
	v_fma_f64 v[214:215], v[214:215], v[188:189], v[190:191]
	ds_read_b128 v[188:191], v175 offset:20736
	s_waitcnt vmcnt(9) lgkmcnt(3)
	v_mul_f64 v[173:174], v[238:239], v[194:195]
	v_mul_f64 v[194:195], v[236:237], v[194:195]
	ds_write_b128 v175, v[212:215] offset:6912
	ds_read_b128 v[212:215], v175 offset:38016
	v_fma_f64 v[236:237], v[236:237], v[192:193], -v[173:174]
	s_waitcnt vmcnt(8) lgkmcnt(2)
	v_mul_f64 v[173:174], v[190:191], v[198:199]
	v_fma_f64 v[238:239], v[238:239], v[192:193], v[194:195]
	v_mul_f64 v[198:199], v[188:189], v[198:199]
	ds_read_b128 v[192:195], v175 offset:27648
	v_fma_f64 v[188:189], v[188:189], v[196:197], -v[173:174]
	s_waitcnt vmcnt(7) lgkmcnt(0)
	v_mul_f64 v[173:174], v[194:195], v[202:203]
	v_fma_f64 v[190:191], v[190:191], v[196:197], v[198:199]
	v_mul_f64 v[202:203], v[192:193], v[202:203]
	ds_read_b128 v[196:199], v175 offset:34560
	ds_write_b128 v175, v[236:239] offset:13824
	v_fma_f64 v[192:193], v[192:193], v[200:201], -v[173:174]
	s_waitcnt vmcnt(6) lgkmcnt(1)
	v_mul_f64 v[173:174], v[198:199], v[206:207]
	v_mul_f64 v[206:207], v[196:197], v[206:207]
	v_fma_f64 v[194:195], v[194:195], v[200:201], v[202:203]
	ds_read_b128 v[200:203], v175 offset:3456
	ds_write_b128 v175, v[188:191] offset:20736
	v_fma_f64 v[196:197], v[196:197], v[204:205], -v[173:174]
	v_fma_f64 v[198:199], v[198:199], v[204:205], v[206:207]
	ds_read_b128 v[204:207], v175 offset:10368
	s_waitcnt vmcnt(5) lgkmcnt(2)
	v_mul_f64 v[173:174], v[202:203], v[218:219]
	v_mul_f64 v[218:219], v[200:201], v[218:219]
	v_fma_f64 v[200:201], v[200:201], v[216:217], -v[173:174]
	s_waitcnt vmcnt(4) lgkmcnt(0)
	v_mul_f64 v[173:174], v[206:207], v[222:223]
	v_fma_f64 v[202:203], v[202:203], v[216:217], v[218:219]
	v_mul_f64 v[222:223], v[204:205], v[222:223]
	ds_read_b128 v[216:219], v175 offset:17280
	s_waitcnt vmcnt(3)
	v_mul_f64 v[236:237], v[210:211], v[186:187]
	v_mul_f64 v[238:239], v[208:209], v[186:187]
	v_fma_f64 v[204:205], v[204:205], v[220:221], -v[173:174]
	s_waitcnt vmcnt(2) lgkmcnt(0)
	v_mul_f64 v[173:174], v[218:219], v[226:227]
	v_mul_f64 v[226:227], v[216:217], v[226:227]
	v_fma_f64 v[206:207], v[206:207], v[220:221], v[222:223]
	ds_read_b128 v[220:223], v175 offset:31104
	v_fma_f64 v[186:187], v[208:209], v[184:185], -v[236:237]
	v_fma_f64 v[188:189], v[210:211], v[184:185], v[238:239]
	v_fma_f64 v[216:217], v[216:217], v[224:225], -v[173:174]
	v_fma_f64 v[218:219], v[218:219], v[224:225], v[226:227]
	s_waitcnt vmcnt(1) lgkmcnt(0)
	v_mul_f64 v[173:174], v[222:223], v[230:231]
	v_mul_f64 v[224:225], v[220:221], v[230:231]
	s_waitcnt vmcnt(0)
	v_mul_f64 v[226:227], v[214:215], v[234:235]
	v_mul_f64 v[230:231], v[212:213], v[234:235]
	v_fma_f64 v[208:209], v[220:221], v[228:229], -v[173:174]
	v_fma_f64 v[210:211], v[222:223], v[228:229], v[224:225]
	v_fma_f64 v[212:213], v[212:213], v[232:233], -v[226:227]
	v_fma_f64 v[214:215], v[214:215], v[232:233], v[230:231]
	ds_write_b128 v175, v[192:195] offset:27648
	ds_write_b128 v175, v[196:199] offset:34560
	;; [unrolled: 1-line block ×8, first 2 shown]
	s_waitcnt lgkmcnt(0)
	s_barrier
	ds_read_b128 v[184:187], v175 offset:34560
	ds_read_b128 v[188:191], v175 offset:20736
	;; [unrolled: 1-line block ×9, first 2 shown]
	s_waitcnt lgkmcnt(7)
	v_add_f64 v[173:174], v[190:191], v[186:187]
	v_add_f64 v[232:233], v[188:189], v[184:185]
	s_waitcnt lgkmcnt(3)
	v_add_f64 v[234:235], v[192:193], v[204:205]
	v_add_f64 v[236:237], v[188:189], -v[184:185]
	ds_read_b128 v[224:227], v175
	ds_read_b128 v[228:231], v175 offset:3456
	v_add_f64 v[238:239], v[194:195], v[206:207]
	v_add_f64 v[240:241], v[190:191], -v[186:187]
	s_waitcnt lgkmcnt(4)
	v_fma_f64 v[173:174], v[173:174], -0.5, v[210:211]
	v_fma_f64 v[232:233], v[232:233], -0.5, v[208:209]
	v_add_f64 v[188:189], v[208:209], v[188:189]
	v_add_f64 v[190:191], v[210:211], v[190:191]
	s_waitcnt lgkmcnt(1)
	v_add_f64 v[210:211], v[224:225], v[192:193]
	v_fma_f64 v[224:225], v[234:235], -0.5, v[224:225]
	v_add_f64 v[234:235], v[194:195], -v[206:207]
	v_add_f64 v[194:195], v[226:227], v[194:195]
	v_fma_f64 v[208:209], v[236:237], s[6:7], v[173:174]
	v_fma_f64 v[238:239], v[238:239], -0.5, v[226:227]
	v_fma_f64 v[226:227], v[240:241], s[8:9], v[232:233]
	v_add_f64 v[190:191], v[190:191], v[186:187]
	v_add_f64 v[192:193], v[192:193], -v[204:205]
	v_add_f64 v[204:205], v[210:211], v[204:205]
	v_fma_f64 v[210:211], v[234:235], s[8:9], v[224:225]
	v_add_f64 v[194:195], v[194:195], v[206:207]
	v_mul_f64 v[242:243], v[208:209], s[8:9]
	v_mul_f64 v[206:207], v[208:209], 0.5
	v_fma_f64 v[224:225], v[234:235], s[6:7], v[224:225]
	v_add_f64 v[188:189], v[188:189], v[184:185]
	ds_read_b128 v[220:223], v175 offset:31104
	v_fma_f64 v[173:174], v[236:237], s[8:9], v[173:174]
	v_fma_f64 v[208:209], v[192:193], s[6:7], v[238:239]
	v_add_f64 v[186:187], v[194:195], v[190:191]
	v_fma_f64 v[234:235], v[226:227], 0.5, v[242:243]
	v_fma_f64 v[206:207], v[226:227], s[6:7], v[206:207]
	s_waitcnt lgkmcnt(1)
	v_add_f64 v[226:227], v[230:231], v[218:219]
	v_add_f64 v[190:191], v[194:195], -v[190:191]
	v_add_f64 v[194:195], v[198:199], v[202:203]
	v_fma_f64 v[232:233], v[240:241], s[6:7], v[232:233]
	v_fma_f64 v[236:237], v[192:193], s[8:9], v[238:239]
	v_add_f64 v[184:185], v[204:205], v[188:189]
	v_add_f64 v[188:189], v[204:205], -v[188:189]
	s_waitcnt lgkmcnt(0)
	v_add_f64 v[204:205], v[216:217], v[220:221]
	v_add_f64 v[238:239], v[196:197], v[200:201]
	v_add_f64 v[240:241], v[218:219], -v[222:223]
	v_add_f64 v[218:219], v[218:219], v[222:223]
	v_add_f64 v[222:223], v[226:227], v[222:223]
	v_fma_f64 v[194:195], v[194:195], -0.5, v[214:215]
	v_add_f64 v[226:227], v[196:197], -v[200:201]
	v_add_f64 v[192:193], v[228:229], v[216:217]
	v_mul_f64 v[242:243], v[173:174], s[8:9]
	v_add_f64 v[196:197], v[212:213], v[196:197]
	v_fma_f64 v[212:213], v[238:239], -0.5, v[212:213]
	v_add_f64 v[214:215], v[214:215], v[198:199]
	v_fma_f64 v[204:205], v[204:205], -0.5, v[228:229]
	v_add_f64 v[198:199], v[198:199], -v[202:203]
	v_fma_f64 v[228:229], v[226:227], s[6:7], v[194:195]
	v_fma_f64 v[194:195], v[226:227], s[8:9], v[194:195]
	v_mul_f64 v[244:245], v[173:174], -0.5
	v_add_f64 v[216:217], v[216:217], -v[220:221]
	v_fma_f64 v[218:219], v[218:219], -0.5, v[230:231]
	v_fma_f64 v[230:231], v[232:233], -0.5, v[242:243]
	v_fma_f64 v[226:227], v[240:241], s[8:9], v[204:205]
	v_fma_f64 v[238:239], v[198:199], s[8:9], v[212:213]
	v_fma_f64 v[212:213], v[198:199], s[6:7], v[212:213]
	v_mul_f64 v[242:243], v[228:229], s[8:9]
	v_fma_f64 v[240:241], v[240:241], s[6:7], v[204:205]
	v_mul_f64 v[204:205], v[194:195], s[8:9]
	v_add_f64 v[250:251], v[214:215], v[202:203]
	v_mul_f64 v[202:203], v[228:229], 0.5
	v_mul_f64 v[214:215], v[194:195], -0.5
	v_fma_f64 v[232:233], v[232:233], s[6:7], v[244:245]
	v_add_f64 v[220:221], v[192:193], v[220:221]
	v_add_f64 v[248:249], v[196:197], v[200:201]
	;; [unrolled: 1-line block ×3, first 2 shown]
	v_fma_f64 v[244:245], v[216:217], s[6:7], v[218:219]
	v_add_f64 v[196:197], v[224:225], v[230:231]
	v_add_f64 v[200:201], v[210:211], -v[234:235]
	v_fma_f64 v[228:229], v[238:239], 0.5, v[242:243]
	v_fma_f64 v[234:235], v[212:213], -0.5, v[204:205]
	v_add_f64 v[204:205], v[224:225], -v[230:231]
	v_fma_f64 v[230:231], v[238:239], s[6:7], v[202:203]
	v_fma_f64 v[246:247], v[216:217], s[8:9], v[218:219]
	;; [unrolled: 1-line block ×3, first 2 shown]
	v_add_f64 v[194:195], v[208:209], v[206:207]
	v_add_f64 v[198:199], v[236:237], v[232:233]
	v_add_f64 v[202:203], v[208:209], -v[206:207]
	v_add_f64 v[206:207], v[236:237], -v[232:233]
	v_add_f64 v[208:209], v[220:221], v[248:249]
	v_add_f64 v[210:211], v[222:223], v[250:251]
	;; [unrolled: 1-line block ×6, first 2 shown]
	v_add_f64 v[220:221], v[220:221], -v[248:249]
	v_add_f64 v[224:225], v[226:227], -v[228:229]
	;; [unrolled: 1-line block ×6, first 2 shown]
	s_barrier
	ds_write_b128 v178, v[184:187]
	ds_write_b128 v178, v[192:195] offset:16
	ds_write_b128 v178, v[196:199] offset:32
	;; [unrolled: 1-line block ×5, first 2 shown]
	ds_write_b128 v179, v[208:211]
	ds_write_b128 v179, v[212:215] offset:16
	ds_write_b128 v179, v[216:219] offset:32
	;; [unrolled: 1-line block ×5, first 2 shown]
	s_waitcnt lgkmcnt(0)
	s_barrier
	ds_read_b128 v[184:187], v175
	ds_read_b128 v[188:191], v175 offset:3456
	ds_read_b128 v[192:195], v175 offset:6912
	;; [unrolled: 1-line block ×7, first 2 shown]
	s_waitcnt lgkmcnt(5)
	v_mul_f64 v[178:179], v[66:67], v[194:195]
	v_mul_f64 v[66:67], v[66:67], v[192:193]
	s_waitcnt lgkmcnt(3)
	v_mul_f64 v[232:233], v[58:59], v[202:203]
	v_mul_f64 v[58:59], v[58:59], v[200:201]
	;; [unrolled: 3-line block ×3, first 2 shown]
	ds_read_b128 v[216:219], v175 offset:27648
	ds_read_b128 v[220:223], v175 offset:31104
	;; [unrolled: 1-line block ×4, first 2 shown]
	v_fma_f64 v[178:179], v[64:65], v[192:193], v[178:179]
	v_fma_f64 v[64:65], v[64:65], v[194:195], -v[66:67]
	v_fma_f64 v[66:67], v[56:57], v[200:201], v[232:233]
	s_waitcnt lgkmcnt(3)
	v_mul_f64 v[192:193], v[50:51], v[218:219]
	v_mul_f64 v[50:51], v[50:51], v[216:217]
	v_fma_f64 v[56:57], v[56:57], v[202:203], -v[58:59]
	v_fma_f64 v[58:59], v[52:53], v[208:209], v[234:235]
	s_waitcnt lgkmcnt(1)
	v_mul_f64 v[194:195], v[74:75], v[226:227]
	v_mul_f64 v[74:75], v[74:75], v[224:225]
	v_fma_f64 v[52:53], v[52:53], v[210:211], -v[54:55]
	v_mul_f64 v[54:55], v[86:87], v[198:199]
	v_fma_f64 v[192:193], v[48:49], v[216:217], v[192:193]
	v_fma_f64 v[48:49], v[48:49], v[218:219], -v[50:51]
	v_mul_f64 v[50:51], v[86:87], v[196:197]
	v_mul_f64 v[86:87], v[82:83], v[206:207]
	v_fma_f64 v[194:195], v[72:73], v[224:225], v[194:195]
	v_fma_f64 v[72:73], v[72:73], v[226:227], -v[74:75]
	v_mul_f64 v[74:75], v[82:83], v[204:205]
	v_fma_f64 v[82:83], v[84:85], v[196:197], v[54:55]
	v_mul_f64 v[54:55], v[78:79], v[214:215]
	v_mul_f64 v[78:79], v[78:79], v[212:213]
	v_fma_f64 v[84:85], v[84:85], v[198:199], -v[50:51]
	v_fma_f64 v[86:87], v[80:81], v[204:205], v[86:87]
	v_mul_f64 v[50:51], v[70:71], v[222:223]
	v_mul_f64 v[70:71], v[70:71], v[220:221]
	v_fma_f64 v[74:75], v[80:81], v[206:207], -v[74:75]
	v_add_f64 v[80:81], v[66:67], v[192:193]
	v_fma_f64 v[196:197], v[76:77], v[212:213], v[54:55]
	v_fma_f64 v[76:77], v[76:77], v[214:215], -v[78:79]
	s_waitcnt lgkmcnt(0)
	v_mul_f64 v[54:55], v[62:63], v[230:231]
	v_add_f64 v[78:79], v[52:53], v[72:73]
	v_fma_f64 v[198:199], v[68:69], v[220:221], v[50:51]
	v_fma_f64 v[70:71], v[68:69], v[222:223], -v[70:71]
	v_add_f64 v[50:51], v[184:185], v[66:67]
	v_fma_f64 v[68:69], v[80:81], -0.5, v[184:185]
	v_add_f64 v[80:81], v[56:57], -v[48:49]
	v_add_f64 v[184:185], v[58:59], v[194:195]
	v_fma_f64 v[200:201], v[60:61], v[228:229], v[54:55]
	v_fma_f64 v[54:55], v[78:79], -0.5, v[64:65]
	v_add_f64 v[78:79], v[58:59], -v[194:195]
	v_add_f64 v[206:207], v[52:53], -v[72:73]
	v_add_f64 v[202:203], v[50:51], v[192:193]
	v_add_f64 v[50:51], v[56:57], v[48:49]
	v_fma_f64 v[204:205], v[80:81], s[8:9], v[68:69]
	v_fma_f64 v[184:185], v[184:185], -0.5, v[178:179]
	v_fma_f64 v[68:69], v[80:81], s[6:7], v[68:69]
	v_add_f64 v[56:57], v[186:187], v[56:57]
	v_fma_f64 v[80:81], v[78:79], s[6:7], v[54:55]
	v_fma_f64 v[54:55], v[78:79], s[8:9], v[54:55]
	v_mul_f64 v[62:63], v[62:63], v[228:229]
	v_fma_f64 v[50:51], v[50:51], -0.5, v[186:187]
	v_add_f64 v[66:67], v[66:67], -v[192:193]
	v_add_f64 v[58:59], v[178:179], v[58:59]
	v_fma_f64 v[78:79], v[206:207], s[8:9], v[184:185]
	v_fma_f64 v[178:179], v[206:207], s[6:7], v[184:185]
	v_mul_f64 v[184:185], v[80:81], s[8:9]
	v_mul_f64 v[186:187], v[54:55], s[8:9]
	v_add_f64 v[192:193], v[56:57], v[48:49]
	v_mul_f64 v[48:49], v[80:81], 0.5
	v_mul_f64 v[54:55], v[54:55], -0.5
	v_add_f64 v[52:53], v[64:65], v[52:53]
	v_fma_f64 v[80:81], v[66:67], s[6:7], v[50:51]
	v_add_f64 v[64:65], v[58:59], v[194:195]
	v_fma_f64 v[184:185], v[78:79], 0.5, v[184:185]
	v_fma_f64 v[186:187], v[178:179], -0.5, v[186:187]
	v_fma_f64 v[194:195], v[66:67], s[8:9], v[50:51]
	v_fma_f64 v[66:67], v[78:79], s[6:7], v[48:49]
	;; [unrolled: 1-line block ×3, first 2 shown]
	v_fma_f64 v[178:179], v[60:61], v[230:231], -v[62:63]
	v_add_f64 v[72:73], v[52:53], v[72:73]
	v_add_f64 v[48:49], v[202:203], v[64:65]
	;; [unrolled: 1-line block ×3, first 2 shown]
	v_add_f64 v[60:61], v[202:203], -v[64:65]
	v_add_f64 v[52:53], v[204:205], v[184:185]
	v_add_f64 v[56:57], v[68:69], v[186:187]
	v_add_f64 v[64:65], v[204:205], -v[184:185]
	v_add_f64 v[202:203], v[76:77], v[178:179]
	v_add_f64 v[50:51], v[192:193], v[72:73]
	;; [unrolled: 1-line block ×3, first 2 shown]
	v_add_f64 v[68:69], v[68:69], -v[186:187]
	v_fma_f64 v[186:187], v[62:63], -0.5, v[188:189]
	v_add_f64 v[188:189], v[74:75], -v[70:71]
	v_add_f64 v[204:205], v[196:197], v[200:201]
	v_add_f64 v[62:63], v[192:193], -v[72:73]
	v_fma_f64 v[72:73], v[202:203], -0.5, v[84:85]
	v_add_f64 v[192:193], v[196:197], -v[200:201]
	v_add_f64 v[202:203], v[190:191], v[74:75]
	v_add_f64 v[74:75], v[74:75], v[70:71]
	v_add_f64 v[208:209], v[76:77], -v[178:179]
	v_fma_f64 v[206:207], v[188:189], s[8:9], v[186:187]
	v_fma_f64 v[204:205], v[204:205], -0.5, v[82:83]
	v_fma_f64 v[186:187], v[188:189], s[6:7], v[186:187]
	v_add_f64 v[82:83], v[82:83], v[196:197]
	v_fma_f64 v[188:189], v[192:193], s[6:7], v[72:73]
	v_fma_f64 v[72:73], v[192:193], s[8:9], v[72:73]
	v_add_f64 v[76:77], v[84:85], v[76:77]
	v_add_f64 v[192:193], v[202:203], v[70:71]
	v_fma_f64 v[70:71], v[74:75], -0.5, v[190:191]
	v_add_f64 v[74:75], v[86:87], -v[198:199]
	v_fma_f64 v[86:87], v[208:209], s[8:9], v[204:205]
	v_add_f64 v[184:185], v[184:185], v[198:199]
	v_mul_f64 v[196:197], v[188:189], s[8:9]
	v_mul_f64 v[84:85], v[188:189], 0.5
	v_fma_f64 v[190:191], v[208:209], s[6:7], v[204:205]
	v_mul_f64 v[198:199], v[72:73], s[8:9]
	v_mul_f64 v[72:73], v[72:73], -0.5
	v_add_f64 v[188:189], v[82:83], v[200:201]
	v_add_f64 v[178:179], v[76:77], v[178:179]
	v_fma_f64 v[202:203], v[74:75], s[6:7], v[70:71]
	v_fma_f64 v[196:197], v[86:87], 0.5, v[196:197]
	v_fma_f64 v[200:201], v[86:87], s[6:7], v[84:85]
	v_fma_f64 v[204:205], v[74:75], s[8:9], v[70:71]
	v_fma_f64 v[198:199], v[190:191], -0.5, v[198:199]
	v_fma_f64 v[190:191], v[190:191], s[6:7], v[72:73]
	v_add_f64 v[54:55], v[80:81], v[66:67]
	v_add_f64 v[58:59], v[194:195], v[78:79]
	v_add_f64 v[66:67], v[80:81], -v[66:67]
	v_add_f64 v[70:71], v[194:195], -v[78:79]
	v_add_f64 v[72:73], v[184:185], v[188:189]
	v_add_f64 v[74:75], v[192:193], v[178:179]
	v_add_f64 v[76:77], v[206:207], v[196:197]
	v_add_f64 v[78:79], v[202:203], v[200:201]
	v_add_f64 v[80:81], v[186:187], v[198:199]
	v_add_f64 v[82:83], v[204:205], v[190:191]
	v_add_f64 v[84:85], v[184:185], -v[188:189]
	v_add_f64 v[184:185], v[206:207], -v[196:197]
	;; [unrolled: 1-line block ×6, first 2 shown]
	s_barrier
	ds_write_b128 v180, v[48:51]
	ds_write_b128 v180, v[52:55] offset:96
	ds_write_b128 v180, v[56:59] offset:192
	ds_write_b128 v180, v[60:63] offset:288
	ds_write_b128 v180, v[64:67] offset:384
	ds_write_b128 v180, v[68:71] offset:480
	ds_write_b128 v181, v[72:75]
	ds_write_b128 v181, v[76:79] offset:96
	ds_write_b128 v181, v[80:83] offset:192
	;; [unrolled: 1-line block ×5, first 2 shown]
	s_waitcnt lgkmcnt(0)
	s_barrier
	ds_read_b128 v[48:51], v175
	ds_read_b128 v[52:55], v175 offset:3456
	ds_read_b128 v[56:59], v175 offset:6912
	;; [unrolled: 1-line block ×7, first 2 shown]
	s_waitcnt lgkmcnt(5)
	v_mul_f64 v[188:189], v[106:107], v[58:59]
	v_mul_f64 v[106:107], v[106:107], v[56:57]
	s_waitcnt lgkmcnt(3)
	v_mul_f64 v[190:191], v[102:103], v[66:67]
	v_mul_f64 v[102:103], v[102:103], v[64:65]
	;; [unrolled: 3-line block ×3, first 2 shown]
	ds_read_b128 v[80:83], v175 offset:27648
	ds_read_b128 v[84:87], v175 offset:31104
	;; [unrolled: 1-line block ×4, first 2 shown]
	v_fma_f64 v[56:57], v[104:105], v[56:57], v[188:189]
	v_fma_f64 v[58:59], v[104:105], v[58:59], -v[106:107]
	v_fma_f64 v[64:65], v[100:101], v[64:65], v[190:191]
	s_waitcnt lgkmcnt(3)
	v_mul_f64 v[104:105], v[90:91], v[82:83]
	v_mul_f64 v[90:91], v[90:91], v[80:81]
	v_fma_f64 v[66:67], v[100:101], v[66:67], -v[102:103]
	v_fma_f64 v[72:73], v[92:93], v[72:73], v[192:193]
	s_waitcnt lgkmcnt(1)
	v_mul_f64 v[100:101], v[114:115], v[180:181]
	v_mul_f64 v[102:103], v[114:115], v[178:179]
	v_fma_f64 v[74:75], v[92:93], v[74:75], -v[94:95]
	v_mul_f64 v[92:93], v[126:127], v[62:63]
	v_fma_f64 v[80:81], v[88:89], v[80:81], v[104:105]
	v_fma_f64 v[82:83], v[88:89], v[82:83], -v[90:91]
	v_mul_f64 v[88:89], v[126:127], v[60:61]
	v_mul_f64 v[90:91], v[122:123], v[70:71]
	v_fma_f64 v[94:95], v[112:113], v[178:179], v[100:101]
	v_fma_f64 v[100:101], v[112:113], v[180:181], -v[102:103]
	v_mul_f64 v[102:103], v[122:123], v[68:69]
	v_fma_f64 v[92:93], v[124:125], v[60:61], v[92:93]
	v_mul_f64 v[60:61], v[118:119], v[78:79]
	v_mul_f64 v[104:105], v[118:119], v[76:77]
	v_fma_f64 v[88:89], v[124:125], v[62:63], -v[88:89]
	v_fma_f64 v[90:91], v[120:121], v[68:69], v[90:91]
	v_mul_f64 v[62:63], v[110:111], v[86:87]
	v_mul_f64 v[68:69], v[110:111], v[84:85]
	v_fma_f64 v[70:71], v[120:121], v[70:71], -v[102:103]
	v_add_f64 v[102:103], v[64:65], v[80:81]
	v_fma_f64 v[76:77], v[116:117], v[76:77], v[60:61]
	v_fma_f64 v[78:79], v[116:117], v[78:79], -v[104:105]
	s_waitcnt lgkmcnt(0)
	v_mul_f64 v[60:61], v[98:99], v[186:187]
	v_add_f64 v[104:105], v[74:75], v[100:101]
	v_fma_f64 v[84:85], v[108:109], v[84:85], v[62:63]
	v_fma_f64 v[86:87], v[108:109], v[86:87], -v[68:69]
	v_add_f64 v[62:63], v[48:49], v[64:65]
	v_fma_f64 v[48:49], v[102:103], -0.5, v[48:49]
	v_add_f64 v[68:69], v[66:67], -v[82:83]
	v_add_f64 v[102:103], v[72:73], v[94:95]
	v_fma_f64 v[106:107], v[96:97], v[184:185], v[60:61]
	v_fma_f64 v[60:61], v[104:105], -0.5, v[58:59]
	v_add_f64 v[104:105], v[72:73], -v[94:95]
	v_mul_f64 v[98:99], v[98:99], v[184:185]
	v_add_f64 v[108:109], v[62:63], v[80:81]
	v_add_f64 v[62:63], v[66:67], v[82:83]
	v_fma_f64 v[110:111], v[68:69], s[8:9], v[48:49]
	v_fma_f64 v[102:103], v[102:103], -0.5, v[56:57]
	v_add_f64 v[112:113], v[74:75], -v[100:101]
	v_fma_f64 v[114:115], v[68:69], s[6:7], v[48:49]
	v_fma_f64 v[48:49], v[104:105], s[6:7], v[60:61]
	;; [unrolled: 1-line block ×3, first 2 shown]
	v_add_f64 v[66:67], v[50:51], v[66:67]
	v_add_f64 v[56:57], v[56:57], v[72:73]
	v_fma_f64 v[50:51], v[62:63], -0.5, v[50:51]
	v_add_f64 v[62:63], v[64:65], -v[80:81]
	v_fma_f64 v[64:65], v[112:113], s[8:9], v[102:103]
	v_fma_f64 v[68:69], v[112:113], s[6:7], v[102:103]
	v_mul_f64 v[72:73], v[48:49], s[8:9]
	v_mul_f64 v[80:81], v[60:61], s[8:9]
	v_add_f64 v[58:59], v[58:59], v[74:75]
	v_add_f64 v[66:67], v[66:67], v[82:83]
	v_mul_f64 v[48:49], v[48:49], 0.5
	v_add_f64 v[82:83], v[56:57], v[94:95]
	v_fma_f64 v[96:97], v[96:97], v[186:187], -v[98:99]
	v_mul_f64 v[60:61], v[60:61], -0.5
	v_fma_f64 v[72:73], v[64:65], 0.5, v[72:73]
	v_fma_f64 v[80:81], v[68:69], -0.5, v[80:81]
	v_add_f64 v[94:95], v[58:59], v[100:101]
	v_add_f64 v[98:99], v[90:91], v[84:85]
	v_fma_f64 v[102:103], v[64:65], s[6:7], v[48:49]
	v_add_f64 v[48:49], v[108:109], v[82:83]
	v_add_f64 v[64:65], v[108:109], -v[82:83]
	v_add_f64 v[82:83], v[78:79], v[96:97]
	v_fma_f64 v[74:75], v[62:63], s[6:7], v[50:51]
	v_fma_f64 v[100:101], v[62:63], s[8:9], v[50:51]
	;; [unrolled: 1-line block ×3, first 2 shown]
	v_add_f64 v[56:57], v[110:111], v[72:73]
	v_add_f64 v[60:61], v[114:115], v[80:81]
	;; [unrolled: 1-line block ×3, first 2 shown]
	v_add_f64 v[68:69], v[110:111], -v[72:73]
	v_add_f64 v[108:109], v[52:53], v[90:91]
	v_add_f64 v[72:73], v[114:115], -v[80:81]
	v_fma_f64 v[52:53], v[98:99], -0.5, v[52:53]
	v_add_f64 v[80:81], v[70:71], -v[86:87]
	v_add_f64 v[98:99], v[76:77], v[106:107]
	v_add_f64 v[66:67], v[66:67], -v[94:95]
	v_fma_f64 v[82:83], v[82:83], -0.5, v[88:89]
	v_add_f64 v[94:95], v[76:77], -v[106:107]
	v_add_f64 v[110:111], v[54:55], v[70:71]
	v_add_f64 v[70:71], v[70:71], v[86:87]
	v_add_f64 v[114:115], v[78:79], -v[96:97]
	v_fma_f64 v[112:113], v[80:81], s[8:9], v[52:53]
	v_fma_f64 v[98:99], v[98:99], -0.5, v[92:93]
	v_fma_f64 v[116:117], v[80:81], s[6:7], v[52:53]
	v_add_f64 v[76:77], v[92:93], v[76:77]
	v_fma_f64 v[52:53], v[94:95], s[6:7], v[82:83]
	v_fma_f64 v[80:81], v[94:95], s[8:9], v[82:83]
	v_add_f64 v[78:79], v[88:89], v[78:79]
	v_fma_f64 v[54:55], v[70:71], -0.5, v[54:55]
	v_add_f64 v[70:71], v[90:91], -v[84:85]
	v_fma_f64 v[82:83], v[114:115], s[8:9], v[98:99]
	v_add_f64 v[108:109], v[108:109], v[84:85]
	v_fma_f64 v[84:85], v[114:115], s[6:7], v[98:99]
	v_mul_f64 v[90:91], v[52:53], s[8:9]
	v_mul_f64 v[52:53], v[52:53], 0.5
	v_mul_f64 v[92:93], v[80:81], s[8:9]
	v_mul_f64 v[80:81], v[80:81], -0.5
	v_add_f64 v[86:87], v[110:111], v[86:87]
	v_add_f64 v[88:89], v[76:77], v[106:107]
	;; [unrolled: 1-line block ×3, first 2 shown]
	v_fma_f64 v[94:95], v[70:71], s[6:7], v[54:55]
	v_fma_f64 v[90:91], v[82:83], 0.5, v[90:91]
	v_fma_f64 v[106:107], v[82:83], s[6:7], v[52:53]
	v_fma_f64 v[98:99], v[70:71], s[8:9], v[54:55]
	v_fma_f64 v[92:93], v[84:85], -0.5, v[92:93]
	v_fma_f64 v[110:111], v[84:85], s[6:7], v[80:81]
	v_add_f64 v[58:59], v[74:75], v[102:103]
	v_add_f64 v[62:63], v[100:101], v[104:105]
	v_add_f64 v[70:71], v[74:75], -v[102:103]
	v_add_f64 v[74:75], v[100:101], -v[104:105]
	v_add_f64 v[52:53], v[108:109], v[88:89]
	v_add_f64 v[54:55], v[86:87], v[96:97]
	v_add_f64 v[76:77], v[112:113], v[90:91]
	v_add_f64 v[78:79], v[94:95], v[106:107]
	v_add_f64 v[80:81], v[116:117], v[92:93]
	v_add_f64 v[82:83], v[98:99], v[110:111]
	v_add_f64 v[84:85], v[108:109], -v[88:89]
	v_add_f64 v[88:89], v[112:113], -v[90:91]
	;; [unrolled: 1-line block ×6, first 2 shown]
	s_barrier
	ds_write_b128 v182, v[48:51]
	ds_write_b128 v182, v[56:59] offset:576
	ds_write_b128 v182, v[60:63] offset:1152
	;; [unrolled: 1-line block ×5, first 2 shown]
	ds_write_b128 v183, v[52:55]
	ds_write_b128 v183, v[76:79] offset:576
	ds_write_b128 v183, v[80:83] offset:1152
	;; [unrolled: 1-line block ×5, first 2 shown]
	s_waitcnt lgkmcnt(0)
	s_barrier
	ds_read_b128 v[48:51], v175
	ds_read_b128 v[52:55], v175 offset:3456
	ds_read_b128 v[56:59], v175 offset:6912
	;; [unrolled: 1-line block ×7, first 2 shown]
	s_waitcnt lgkmcnt(5)
	v_mul_f64 v[96:97], v[146:147], v[58:59]
	v_mul_f64 v[98:99], v[146:147], v[56:57]
	s_waitcnt lgkmcnt(3)
	v_mul_f64 v[100:101], v[142:143], v[66:67]
	v_mul_f64 v[102:103], v[142:143], v[64:65]
	s_waitcnt lgkmcnt(1)
	v_mul_f64 v[104:105], v[138:139], v[74:75]
	ds_read_b128 v[80:83], v175 offset:27648
	ds_read_b128 v[84:87], v175 offset:31104
	;; [unrolled: 1-line block ×4, first 2 shown]
	s_waitcnt lgkmcnt(0)
	v_fma_f64 v[56:57], v[144:145], v[56:57], v[96:97]
	v_mul_f64 v[96:97], v[138:139], v[72:73]
	v_fma_f64 v[58:59], v[144:145], v[58:59], -v[98:99]
	v_fma_f64 v[64:65], v[140:141], v[64:65], v[100:101]
	v_mul_f64 v[98:99], v[134:135], v[82:83]
	v_mul_f64 v[100:101], v[134:135], v[80:81]
	v_fma_f64 v[66:67], v[140:141], v[66:67], -v[102:103]
	v_fma_f64 v[72:73], v[136:137], v[72:73], v[104:105]
	v_mul_f64 v[102:103], v[130:131], v[90:91]
	v_mul_f64 v[104:105], v[130:131], v[88:89]
	v_fma_f64 v[74:75], v[136:137], v[74:75], -v[96:97]
	v_mul_f64 v[96:97], v[146:147], v[62:63]
	v_fma_f64 v[80:81], v[132:133], v[80:81], v[98:99]
	v_fma_f64 v[82:83], v[132:133], v[82:83], -v[100:101]
	v_mul_f64 v[98:99], v[146:147], v[60:61]
	v_mul_f64 v[100:101], v[142:143], v[70:71]
	v_fma_f64 v[88:89], v[128:129], v[88:89], v[102:103]
	v_fma_f64 v[90:91], v[128:129], v[90:91], -v[104:105]
	v_mul_f64 v[102:103], v[142:143], v[68:69]
	v_fma_f64 v[96:97], v[144:145], v[60:61], v[96:97]
	v_mul_f64 v[60:61], v[138:139], v[78:79]
	v_mul_f64 v[104:105], v[138:139], v[76:77]
	v_fma_f64 v[98:99], v[144:145], v[62:63], -v[98:99]
	v_fma_f64 v[100:101], v[140:141], v[68:69], v[100:101]
	v_mul_f64 v[62:63], v[134:135], v[86:87]
	v_mul_f64 v[68:69], v[134:135], v[84:85]
	v_fma_f64 v[70:71], v[140:141], v[70:71], -v[102:103]
	v_add_f64 v[102:103], v[64:65], v[80:81]
	v_fma_f64 v[76:77], v[136:137], v[76:77], v[60:61]
	v_fma_f64 v[78:79], v[136:137], v[78:79], -v[104:105]
	v_mul_f64 v[60:61], v[130:131], v[94:95]
	v_add_f64 v[104:105], v[74:75], v[90:91]
	v_fma_f64 v[84:85], v[132:133], v[84:85], v[62:63]
	v_fma_f64 v[86:87], v[132:133], v[86:87], -v[68:69]
	v_add_f64 v[62:63], v[48:49], v[64:65]
	v_fma_f64 v[48:49], v[102:103], -0.5, v[48:49]
	v_add_f64 v[68:69], v[66:67], -v[82:83]
	v_add_f64 v[102:103], v[72:73], v[88:89]
	v_fma_f64 v[106:107], v[128:129], v[92:93], v[60:61]
	v_fma_f64 v[60:61], v[104:105], -0.5, v[58:59]
	v_add_f64 v[104:105], v[72:73], -v[88:89]
	v_mul_f64 v[92:93], v[130:131], v[92:93]
	v_add_f64 v[108:109], v[62:63], v[80:81]
	v_add_f64 v[62:63], v[66:67], v[82:83]
	v_fma_f64 v[110:111], v[68:69], s[8:9], v[48:49]
	v_fma_f64 v[102:103], v[102:103], -0.5, v[56:57]
	v_add_f64 v[112:113], v[74:75], -v[90:91]
	v_fma_f64 v[114:115], v[68:69], s[6:7], v[48:49]
	v_fma_f64 v[48:49], v[104:105], s[6:7], v[60:61]
	;; [unrolled: 1-line block ×3, first 2 shown]
	v_add_f64 v[66:67], v[50:51], v[66:67]
	v_add_f64 v[56:57], v[56:57], v[72:73]
	v_fma_f64 v[50:51], v[62:63], -0.5, v[50:51]
	v_add_f64 v[62:63], v[64:65], -v[80:81]
	v_fma_f64 v[64:65], v[112:113], s[8:9], v[102:103]
	v_fma_f64 v[68:69], v[112:113], s[6:7], v[102:103]
	v_mul_f64 v[72:73], v[48:49], s[8:9]
	v_mul_f64 v[80:81], v[60:61], s[8:9]
	v_add_f64 v[58:59], v[58:59], v[74:75]
	v_add_f64 v[66:67], v[66:67], v[82:83]
	v_mul_f64 v[48:49], v[48:49], 0.5
	v_add_f64 v[82:83], v[56:57], v[88:89]
	v_fma_f64 v[92:93], v[128:129], v[94:95], -v[92:93]
	v_mul_f64 v[60:61], v[60:61], -0.5
	v_fma_f64 v[72:73], v[64:65], 0.5, v[72:73]
	v_fma_f64 v[80:81], v[68:69], -0.5, v[80:81]
	v_add_f64 v[88:89], v[58:59], v[90:91]
	v_add_f64 v[94:95], v[100:101], v[84:85]
	v_fma_f64 v[102:103], v[64:65], s[6:7], v[48:49]
	v_add_f64 v[48:49], v[108:109], v[82:83]
	v_add_f64 v[64:65], v[108:109], -v[82:83]
	v_add_f64 v[82:83], v[78:79], v[92:93]
	v_fma_f64 v[74:75], v[62:63], s[6:7], v[50:51]
	v_fma_f64 v[90:91], v[62:63], s[8:9], v[50:51]
	;; [unrolled: 1-line block ×3, first 2 shown]
	v_add_f64 v[56:57], v[110:111], v[72:73]
	v_add_f64 v[60:61], v[114:115], v[80:81]
	;; [unrolled: 1-line block ×3, first 2 shown]
	v_add_f64 v[68:69], v[110:111], -v[72:73]
	v_add_f64 v[108:109], v[52:53], v[100:101]
	v_add_f64 v[72:73], v[114:115], -v[80:81]
	v_fma_f64 v[52:53], v[94:95], -0.5, v[52:53]
	v_add_f64 v[80:81], v[70:71], -v[86:87]
	v_add_f64 v[94:95], v[76:77], v[106:107]
	v_add_f64 v[66:67], v[66:67], -v[88:89]
	v_fma_f64 v[82:83], v[82:83], -0.5, v[98:99]
	v_add_f64 v[88:89], v[76:77], -v[106:107]
	v_add_f64 v[110:111], v[54:55], v[70:71]
	v_add_f64 v[70:71], v[70:71], v[86:87]
	v_add_f64 v[114:115], v[78:79], -v[92:93]
	v_fma_f64 v[112:113], v[80:81], s[8:9], v[52:53]
	v_fma_f64 v[94:95], v[94:95], -0.5, v[96:97]
	v_fma_f64 v[116:117], v[80:81], s[6:7], v[52:53]
	v_add_f64 v[76:77], v[96:97], v[76:77]
	v_fma_f64 v[52:53], v[88:89], s[6:7], v[82:83]
	v_fma_f64 v[80:81], v[88:89], s[8:9], v[82:83]
	v_add_f64 v[78:79], v[98:99], v[78:79]
	v_add_f64 v[108:109], v[108:109], v[84:85]
	v_fma_f64 v[54:55], v[70:71], -0.5, v[54:55]
	v_add_f64 v[70:71], v[100:101], -v[84:85]
	v_fma_f64 v[82:83], v[114:115], s[8:9], v[94:95]
	v_fma_f64 v[84:85], v[114:115], s[6:7], v[94:95]
	v_mul_f64 v[88:89], v[52:53], s[8:9]
	v_mul_f64 v[94:95], v[80:81], s[8:9]
	v_mul_f64 v[52:53], v[52:53], 0.5
	v_mul_f64 v[80:81], v[80:81], -0.5
	v_add_f64 v[86:87], v[110:111], v[86:87]
	v_add_f64 v[100:101], v[76:77], v[106:107]
	;; [unrolled: 1-line block ×3, first 2 shown]
	v_fma_f64 v[96:97], v[70:71], s[6:7], v[54:55]
	v_fma_f64 v[98:99], v[70:71], s[8:9], v[54:55]
	v_fma_f64 v[88:89], v[82:83], 0.5, v[88:89]
	v_fma_f64 v[94:95], v[84:85], -0.5, v[94:95]
	v_fma_f64 v[110:111], v[82:83], s[6:7], v[52:53]
	v_fma_f64 v[114:115], v[84:85], s[6:7], v[80:81]
	v_add_f64 v[58:59], v[74:75], v[102:103]
	v_add_f64 v[62:63], v[90:91], v[104:105]
	v_add_f64 v[70:71], v[74:75], -v[102:103]
	v_add_f64 v[74:75], v[90:91], -v[104:105]
	v_add_f64 v[52:53], v[108:109], v[100:101]
	v_add_f64 v[54:55], v[86:87], v[106:107]
	v_add_f64 v[76:77], v[112:113], v[88:89]
	v_add_f64 v[80:81], v[116:117], v[94:95]
	v_add_f64 v[78:79], v[96:97], v[110:111]
	v_add_f64 v[82:83], v[98:99], v[114:115]
	v_add_f64 v[84:85], v[108:109], -v[100:101]
	v_add_f64 v[88:89], v[112:113], -v[88:89]
	;; [unrolled: 1-line block ×6, first 2 shown]
	s_barrier
	ds_write_b128 v175, v[48:51]
	ds_write_b128 v175, v[56:59] offset:3456
	ds_write_b128 v175, v[60:63] offset:6912
	;; [unrolled: 1-line block ×11, first 2 shown]
	s_waitcnt lgkmcnt(0)
	s_barrier
	ds_read_b128 v[48:51], v175
	ds_read_b128 v[52:55], v175 offset:3456
	ds_read_b128 v[56:59], v175 offset:20736
	;; [unrolled: 1-line block ×11, first 2 shown]
	s_waitcnt lgkmcnt(9)
	v_mul_f64 v[96:97], v[150:151], v[58:59]
	v_mul_f64 v[98:99], v[150:151], v[56:57]
	s_waitcnt lgkmcnt(8)
	v_mul_f64 v[100:101], v[154:155], v[62:63]
	v_mul_f64 v[102:103], v[154:155], v[60:61]
	;; [unrolled: 3-line block ×4, first 2 shown]
	v_fma_f64 v[56:57], v[148:149], v[56:57], v[96:97]
	v_fma_f64 v[58:59], v[148:149], v[58:59], -v[98:99]
	v_fma_f64 v[60:61], v[152:153], v[60:61], v[100:101]
	v_fma_f64 v[62:63], v[152:153], v[62:63], -v[102:103]
	s_waitcnt lgkmcnt(1)
	v_mul_f64 v[96:97], v[162:163], v[90:91]
	v_mul_f64 v[98:99], v[162:163], v[88:89]
	s_waitcnt lgkmcnt(0)
	v_mul_f64 v[100:101], v[170:171], v[94:95]
	v_mul_f64 v[102:103], v[170:171], v[92:93]
	v_fma_f64 v[72:73], v[156:157], v[72:73], v[104:105]
	v_fma_f64 v[74:75], v[156:157], v[74:75], -v[106:107]
	v_fma_f64 v[76:77], v[164:165], v[76:77], v[108:109]
	v_fma_f64 v[78:79], v[164:165], v[78:79], -v[110:111]
	v_add_f64 v[56:57], v[48:49], -v[56:57]
	v_add_f64 v[58:59], v[50:51], -v[58:59]
	v_fma_f64 v[88:89], v[160:161], v[88:89], v[96:97]
	v_fma_f64 v[90:91], v[160:161], v[90:91], -v[98:99]
	v_fma_f64 v[92:93], v[168:169], v[92:93], v[100:101]
	v_fma_f64 v[94:95], v[168:169], v[94:95], -v[102:103]
	v_add_f64 v[60:61], v[52:53], -v[60:61]
	v_add_f64 v[62:63], v[54:55], -v[62:63]
	;; [unrolled: 1-line block ×6, first 2 shown]
	v_fma_f64 v[48:49], v[48:49], 2.0, -v[56:57]
	v_fma_f64 v[50:51], v[50:51], 2.0, -v[58:59]
	v_add_f64 v[88:89], v[80:81], -v[88:89]
	v_add_f64 v[90:91], v[82:83], -v[90:91]
	;; [unrolled: 1-line block ×4, first 2 shown]
	v_fma_f64 v[52:53], v[52:53], 2.0, -v[60:61]
	v_fma_f64 v[54:55], v[54:55], 2.0, -v[62:63]
	;; [unrolled: 1-line block ×6, first 2 shown]
	v_mad_u64_u32 v[173:174], s[10:11], s2, v172, 0
	v_fma_f64 v[80:81], v[80:81], 2.0, -v[88:89]
	v_fma_f64 v[82:83], v[82:83], 2.0, -v[90:91]
	;; [unrolled: 1-line block ×4, first 2 shown]
	ds_write_b128 v175, v[48:51]
	ds_write_b128 v175, v[56:59] offset:20736
	ds_write_b128 v175, v[52:55] offset:3456
	;; [unrolled: 1-line block ×11, first 2 shown]
	s_waitcnt lgkmcnt(0)
	s_barrier
	ds_read_b128 v[48:51], v175
	v_mov_b32_e32 v52, v174
	v_mad_u64_u32 v[58:59], s[2:3], s3, v172, v[52:53]
	ds_read_b128 v[52:55], v175 offset:3456
	s_waitcnt lgkmcnt(1)
	v_mul_f64 v[56:57], v[46:47], v[50:51]
	v_mul_f64 v[46:47], v[46:47], v[48:49]
	v_mad_u64_u32 v[60:61], s[2:3], s0, v176, 0
	s_mov_b32 s2, 0xfcd6e9e0
	s_mov_b32 s3, 0x3f3948b0
	v_mov_b32_e32 v174, v58
	v_lshlrev_b64 v[62:63], 4, v[173:174]
	v_fma_f64 v[48:49], v[44:45], v[48:49], v[56:57]
	v_fma_f64 v[46:47], v[44:45], v[50:51], -v[46:47]
	v_mov_b32_e32 v44, v61
	v_mad_u64_u32 v[56:57], s[6:7], s1, v176, v[44:45]
	v_mov_b32_e32 v66, s5
	v_add_co_u32_e32 v62, vcc, s4, v62
	v_mul_f64 v[44:45], v[48:49], s[2:3]
	ds_read_b128 v[48:51], v175 offset:6912
	v_mov_b32_e32 v61, v56
	ds_read_b128 v[56:59], v175 offset:10368
	v_mul_f64 v[46:47], v[46:47], s[2:3]
	v_lshlrev_b64 v[60:61], 4, v[60:61]
	s_waitcnt lgkmcnt(1)
	v_mul_f64 v[64:65], v[2:3], v[50:51]
	v_mul_f64 v[2:3], v[2:3], v[48:49]
	v_addc_co_u32_e32 v63, vcc, v66, v63, vcc
	s_mul_i32 s4, s1, 0x1b00
	s_mul_hi_u32 s5, s0, 0x1b00
	s_add_i32 s6, s5, s4
	s_mul_i32 s7, s0, 0x1b00
	v_fma_f64 v[48:49], v[0:1], v[48:49], v[64:65]
	v_fma_f64 v[50:51], v[0:1], v[50:51], -v[2:3]
	ds_read_b128 v[0:3], v175 offset:13824
	v_add_co_u32_e32 v64, vcc, v62, v60
	v_addc_co_u32_e32 v65, vcc, v63, v61, vcc
	global_store_dwordx4 v[64:65], v[44:47], off
	ds_read_b128 v[60:63], v175 offset:20736
	v_mul_f64 v[44:45], v[48:49], s[2:3]
	v_mul_f64 v[46:47], v[50:51], s[2:3]
	ds_read_b128 v[48:51], v175 offset:17280
	s_waitcnt lgkmcnt(2)
	v_mul_f64 v[66:67], v[6:7], v[2:3]
	v_mul_f64 v[6:7], v[6:7], v[0:1]
	v_mov_b32_e32 v70, s6
	v_add_co_u32_e32 v64, vcc, s7, v64
	v_addc_co_u32_e32 v65, vcc, v65, v70, vcc
	global_store_dwordx4 v[64:65], v[44:47], off
	v_fma_f64 v[66:67], v[4:5], v[0:1], v[66:67]
	v_fma_f64 v[6:7], v[4:5], v[2:3], -v[6:7]
	ds_read_b128 v[0:3], v175 offset:24192
	s_waitcnt lgkmcnt(2)
	v_mul_f64 v[68:69], v[10:11], v[62:63]
	v_mul_f64 v[10:11], v[10:11], v[60:61]
	ds_read_b128 v[44:47], v175 offset:27648
	v_add_co_u32_e32 v64, vcc, s7, v64
	v_mul_f64 v[4:5], v[66:67], s[2:3]
	v_mul_f64 v[6:7], v[6:7], s[2:3]
	v_addc_co_u32_e32 v65, vcc, v65, v70, vcc
	v_fma_f64 v[60:61], v[8:9], v[60:61], v[68:69]
	v_fma_f64 v[62:63], v[8:9], v[62:63], -v[10:11]
	ds_read_b128 v[8:11], v175 offset:31104
	s_waitcnt lgkmcnt(1)
	v_mul_f64 v[66:67], v[14:15], v[46:47]
	v_mul_f64 v[14:15], v[14:15], v[44:45]
	global_store_dwordx4 v[64:65], v[4:7], off
	v_mov_b32_e32 v68, s6
	v_add_co_u32_e32 v64, vcc, s7, v64
	v_mul_f64 v[4:5], v[60:61], s[2:3]
	v_mul_f64 v[6:7], v[62:63], s[2:3]
	ds_read_b128 v[60:63], v175 offset:34560
	v_fma_f64 v[44:45], v[12:13], v[44:45], v[66:67]
	v_fma_f64 v[46:47], v[12:13], v[46:47], -v[14:15]
	ds_read_b128 v[12:15], v175 offset:38016
	v_addc_co_u32_e32 v65, vcc, v65, v68, vcc
	s_waitcnt lgkmcnt(1)
	v_mul_f64 v[66:67], v[22:23], v[62:63]
	v_mul_f64 v[22:23], v[22:23], v[60:61]
	global_store_dwordx4 v[64:65], v[4:7], off
	s_mulk_i32 s1, 0x8680
	v_mul_f64 v[4:5], v[44:45], s[2:3]
	v_mul_f64 v[6:7], v[46:47], s[2:3]
	v_mov_b32_e32 v47, s6
	v_add_co_u32_e32 v46, vcc, s7, v64
	v_fma_f64 v[44:45], v[20:21], v[60:61], v[66:67]
	v_fma_f64 v[20:21], v[20:21], v[62:63], -v[22:23]
	v_mul_f64 v[22:23], v[18:19], v[54:55]
	v_mul_f64 v[18:19], v[18:19], v[52:53]
	v_addc_co_u32_e32 v47, vcc, v65, v47, vcc
	global_store_dwordx4 v[46:47], v[4:7], off
	s_nop 0
	v_mul_f64 v[4:5], v[44:45], s[2:3]
	v_mul_f64 v[6:7], v[20:21], s[2:3]
	v_fma_f64 v[20:21], v[16:17], v[52:53], v[22:23]
	v_fma_f64 v[16:17], v[16:17], v[54:55], -v[18:19]
	v_mul_f64 v[18:19], v[26:27], v[58:59]
	v_mul_f64 v[22:23], v[26:27], v[56:57]
	v_mov_b32_e32 v44, s6
	v_add_co_u32_e32 v26, vcc, s7, v46
	v_addc_co_u32_e32 v27, vcc, v47, v44, vcc
	global_store_dwordx4 v[26:27], v[4:7], off
	v_fma_f64 v[18:19], v[24:25], v[56:57], v[18:19]
	v_mul_f64 v[4:5], v[20:21], s[2:3]
	v_mul_f64 v[6:7], v[16:17], s[2:3]
	v_fma_f64 v[20:21], v[24:25], v[58:59], -v[22:23]
	v_mul_f64 v[22:23], v[30:31], v[50:51]
	v_mul_f64 v[24:25], v[30:31], v[48:49]
	v_mad_u64_u32 v[16:17], s[4:5], s0, v177, v[26:27]
	s_sub_i32 s0, s1, s0
	v_mov_b32_e32 v26, s6
	v_add_u32_e32 v17, s0, v17
	global_store_dwordx4 v[16:17], v[4:7], off
	v_add_co_u32_e32 v16, vcc, s7, v16
	v_mul_f64 v[4:5], v[18:19], s[2:3]
	v_mul_f64 v[6:7], v[20:21], s[2:3]
	v_fma_f64 v[18:19], v[28:29], v[48:49], v[22:23]
	v_fma_f64 v[20:21], v[28:29], v[50:51], -v[24:25]
	v_mul_f64 v[22:23], v[34:35], v[2:3]
	v_mul_f64 v[24:25], v[34:35], v[0:1]
	v_addc_co_u32_e32 v17, vcc, v17, v26, vcc
	global_store_dwordx4 v[16:17], v[4:7], off
	s_nop 0
	v_mul_f64 v[4:5], v[18:19], s[2:3]
	v_mov_b32_e32 v18, s6
	v_add_co_u32_e32 v16, vcc, s7, v16
	v_mul_f64 v[6:7], v[20:21], s[2:3]
	v_fma_f64 v[0:1], v[32:33], v[0:1], v[22:23]
	v_fma_f64 v[2:3], v[32:33], v[2:3], -v[24:25]
	v_addc_co_u32_e32 v17, vcc, v17, v18, vcc
	v_mul_f64 v[18:19], v[38:39], v[10:11]
	v_mul_f64 v[20:21], v[38:39], v[8:9]
	s_waitcnt lgkmcnt(0)
	v_mul_f64 v[22:23], v[42:43], v[14:15]
	v_mul_f64 v[24:25], v[42:43], v[12:13]
	global_store_dwordx4 v[16:17], v[4:7], off
	v_mul_f64 v[0:1], v[0:1], s[2:3]
	v_mul_f64 v[2:3], v[2:3], s[2:3]
	v_fma_f64 v[4:5], v[36:37], v[8:9], v[18:19]
	v_fma_f64 v[6:7], v[36:37], v[10:11], -v[20:21]
	v_fma_f64 v[8:9], v[40:41], v[12:13], v[22:23]
	v_fma_f64 v[10:11], v[40:41], v[14:15], -v[24:25]
	v_add_co_u32_e32 v12, vcc, s7, v16
	v_addc_co_u32_e32 v13, vcc, v17, v26, vcc
	global_store_dwordx4 v[12:13], v[0:3], off
	v_mov_b32_e32 v14, s6
	v_mul_f64 v[0:1], v[4:5], s[2:3]
	v_mul_f64 v[2:3], v[6:7], s[2:3]
	;; [unrolled: 1-line block ×4, first 2 shown]
	v_add_co_u32_e32 v8, vcc, s7, v12
	v_addc_co_u32_e32 v9, vcc, v13, v14, vcc
	global_store_dwordx4 v[8:9], v[0:3], off
	s_nop 0
	v_mov_b32_e32 v1, s6
	v_add_co_u32_e32 v0, vcc, s7, v8
	v_addc_co_u32_e32 v1, vcc, v9, v1, vcc
	global_store_dwordx4 v[0:1], v[4:7], off
.LBB0_2:
	s_endpgm
	.section	.rodata,"a",@progbits
	.p2align	6, 0x0
	.amdhsa_kernel bluestein_single_fwd_len2592_dim1_dp_op_CI_CI
		.amdhsa_group_segment_fixed_size 41472
		.amdhsa_private_segment_fixed_size 0
		.amdhsa_kernarg_size 104
		.amdhsa_user_sgpr_count 6
		.amdhsa_user_sgpr_private_segment_buffer 1
		.amdhsa_user_sgpr_dispatch_ptr 0
		.amdhsa_user_sgpr_queue_ptr 0
		.amdhsa_user_sgpr_kernarg_segment_ptr 1
		.amdhsa_user_sgpr_dispatch_id 0
		.amdhsa_user_sgpr_flat_scratch_init 0
		.amdhsa_user_sgpr_private_segment_size 0
		.amdhsa_uses_dynamic_stack 0
		.amdhsa_system_sgpr_private_segment_wavefront_offset 0
		.amdhsa_system_sgpr_workgroup_id_x 1
		.amdhsa_system_sgpr_workgroup_id_y 0
		.amdhsa_system_sgpr_workgroup_id_z 0
		.amdhsa_system_sgpr_workgroup_info 0
		.amdhsa_system_vgpr_workitem_id 0
		.amdhsa_next_free_vgpr 252
		.amdhsa_next_free_sgpr 22
		.amdhsa_reserve_vcc 1
		.amdhsa_reserve_flat_scratch 0
		.amdhsa_float_round_mode_32 0
		.amdhsa_float_round_mode_16_64 0
		.amdhsa_float_denorm_mode_32 3
		.amdhsa_float_denorm_mode_16_64 3
		.amdhsa_dx10_clamp 1
		.amdhsa_ieee_mode 1
		.amdhsa_fp16_overflow 0
		.amdhsa_exception_fp_ieee_invalid_op 0
		.amdhsa_exception_fp_denorm_src 0
		.amdhsa_exception_fp_ieee_div_zero 0
		.amdhsa_exception_fp_ieee_overflow 0
		.amdhsa_exception_fp_ieee_underflow 0
		.amdhsa_exception_fp_ieee_inexact 0
		.amdhsa_exception_int_div_zero 0
	.end_amdhsa_kernel
	.text
.Lfunc_end0:
	.size	bluestein_single_fwd_len2592_dim1_dp_op_CI_CI, .Lfunc_end0-bluestein_single_fwd_len2592_dim1_dp_op_CI_CI
                                        ; -- End function
	.section	.AMDGPU.csdata,"",@progbits
; Kernel info:
; codeLenInByte = 14828
; NumSgprs: 26
; NumVgprs: 252
; ScratchSize: 0
; MemoryBound: 0
; FloatMode: 240
; IeeeMode: 1
; LDSByteSize: 41472 bytes/workgroup (compile time only)
; SGPRBlocks: 3
; VGPRBlocks: 62
; NumSGPRsForWavesPerEU: 26
; NumVGPRsForWavesPerEU: 252
; Occupancy: 1
; WaveLimiterHint : 1
; COMPUTE_PGM_RSRC2:SCRATCH_EN: 0
; COMPUTE_PGM_RSRC2:USER_SGPR: 6
; COMPUTE_PGM_RSRC2:TRAP_HANDLER: 0
; COMPUTE_PGM_RSRC2:TGID_X_EN: 1
; COMPUTE_PGM_RSRC2:TGID_Y_EN: 0
; COMPUTE_PGM_RSRC2:TGID_Z_EN: 0
; COMPUTE_PGM_RSRC2:TIDIG_COMP_CNT: 0
	.type	__hip_cuid_aebcd352a35b93f6,@object ; @__hip_cuid_aebcd352a35b93f6
	.section	.bss,"aw",@nobits
	.globl	__hip_cuid_aebcd352a35b93f6
__hip_cuid_aebcd352a35b93f6:
	.byte	0                               ; 0x0
	.size	__hip_cuid_aebcd352a35b93f6, 1

	.ident	"AMD clang version 19.0.0git (https://github.com/RadeonOpenCompute/llvm-project roc-6.4.0 25133 c7fe45cf4b819c5991fe208aaa96edf142730f1d)"
	.section	".note.GNU-stack","",@progbits
	.addrsig
	.addrsig_sym __hip_cuid_aebcd352a35b93f6
	.amdgpu_metadata
---
amdhsa.kernels:
  - .args:
      - .actual_access:  read_only
        .address_space:  global
        .offset:         0
        .size:           8
        .value_kind:     global_buffer
      - .actual_access:  read_only
        .address_space:  global
        .offset:         8
        .size:           8
        .value_kind:     global_buffer
      - .actual_access:  read_only
        .address_space:  global
        .offset:         16
        .size:           8
        .value_kind:     global_buffer
      - .actual_access:  read_only
        .address_space:  global
        .offset:         24
        .size:           8
        .value_kind:     global_buffer
      - .actual_access:  read_only
        .address_space:  global
        .offset:         32
        .size:           8
        .value_kind:     global_buffer
      - .offset:         40
        .size:           8
        .value_kind:     by_value
      - .address_space:  global
        .offset:         48
        .size:           8
        .value_kind:     global_buffer
      - .address_space:  global
        .offset:         56
        .size:           8
        .value_kind:     global_buffer
      - .address_space:  global
        .offset:         64
        .size:           8
        .value_kind:     global_buffer
      - .address_space:  global
        .offset:         72
        .size:           8
        .value_kind:     global_buffer
      - .offset:         80
        .size:           4
        .value_kind:     by_value
      - .address_space:  global
        .offset:         88
        .size:           8
        .value_kind:     global_buffer
      - .address_space:  global
        .offset:         96
        .size:           8
        .value_kind:     global_buffer
    .group_segment_fixed_size: 41472
    .kernarg_segment_align: 8
    .kernarg_segment_size: 104
    .language:       OpenCL C
    .language_version:
      - 2
      - 0
    .max_flat_workgroup_size: 216
    .name:           bluestein_single_fwd_len2592_dim1_dp_op_CI_CI
    .private_segment_fixed_size: 0
    .sgpr_count:     26
    .sgpr_spill_count: 0
    .symbol:         bluestein_single_fwd_len2592_dim1_dp_op_CI_CI.kd
    .uniform_work_group_size: 1
    .uses_dynamic_stack: false
    .vgpr_count:     252
    .vgpr_spill_count: 0
    .wavefront_size: 64
amdhsa.target:   amdgcn-amd-amdhsa--gfx906
amdhsa.version:
  - 1
  - 2
...

	.end_amdgpu_metadata
